;; amdgpu-corpus repo=ROCm/rocFFT kind=compiled arch=gfx1030 opt=O3
	.text
	.amdgcn_target "amdgcn-amd-amdhsa--gfx1030"
	.amdhsa_code_object_version 6
	.protected	fft_rtc_back_len357_factors_17_3_7_wgs_187_tpt_17_halfLds_sp_op_CI_CI_unitstride_sbrr_dirReg ; -- Begin function fft_rtc_back_len357_factors_17_3_7_wgs_187_tpt_17_halfLds_sp_op_CI_CI_unitstride_sbrr_dirReg
	.globl	fft_rtc_back_len357_factors_17_3_7_wgs_187_tpt_17_halfLds_sp_op_CI_CI_unitstride_sbrr_dirReg
	.p2align	8
	.type	fft_rtc_back_len357_factors_17_3_7_wgs_187_tpt_17_halfLds_sp_op_CI_CI_unitstride_sbrr_dirReg,@function
fft_rtc_back_len357_factors_17_3_7_wgs_187_tpt_17_halfLds_sp_op_CI_CI_unitstride_sbrr_dirReg: ; @fft_rtc_back_len357_factors_17_3_7_wgs_187_tpt_17_halfLds_sp_op_CI_CI_unitstride_sbrr_dirReg
; %bb.0:
	s_load_dwordx4 s[12:15], s[4:5], 0x0
	v_mul_u32_u24_e32 v1, 0xf10, v0
	s_clause 0x1
	s_load_dwordx4 s[8:11], s[4:5], 0x58
	s_load_dwordx4 s[16:19], s[4:5], 0x18
	v_mov_b32_e32 v5, 0
	v_mov_b32_e32 v77, 0
	;; [unrolled: 1-line block ×3, first 2 shown]
	v_lshrrev_b32_e32 v1, 16, v1
	v_mad_u64_u32 v[75:76], null, s6, 11, v[1:2]
	v_mov_b32_e32 v76, v5
	v_mov_b32_e32 v1, v77
	;; [unrolled: 1-line block ×4, first 2 shown]
	s_waitcnt lgkmcnt(0)
	v_cmp_lt_u64_e64 s0, s[14:15], 2
	v_mov_b32_e32 v4, v76
	s_and_b32 vcc_lo, exec_lo, s0
	s_cbranch_vccnz .LBB0_8
; %bb.1:
	s_load_dwordx2 s[0:1], s[4:5], 0x10
	v_mov_b32_e32 v77, 0
	v_mov_b32_e32 v78, 0
	s_add_u32 s2, s18, 8
	v_mov_b32_e32 v7, v75
	s_addc_u32 s3, s19, 0
	v_mov_b32_e32 v1, v77
	v_mov_b32_e32 v8, v76
	s_add_u32 s6, s16, 8
	v_mov_b32_e32 v2, v78
	s_addc_u32 s7, s17, 0
	s_mov_b64 s[22:23], 1
	s_waitcnt lgkmcnt(0)
	s_add_u32 s20, s0, 8
	s_addc_u32 s21, s1, 0
.LBB0_2:                                ; =>This Inner Loop Header: Depth=1
	s_load_dwordx2 s[24:25], s[20:21], 0x0
                                        ; implicit-def: $vgpr3_vgpr4
	s_mov_b32 s0, exec_lo
	s_waitcnt lgkmcnt(0)
	v_or_b32_e32 v6, s25, v8
	v_cmpx_ne_u64_e32 0, v[5:6]
	s_xor_b32 s1, exec_lo, s0
	s_cbranch_execz .LBB0_4
; %bb.3:                                ;   in Loop: Header=BB0_2 Depth=1
	v_cvt_f32_u32_e32 v3, s24
	v_cvt_f32_u32_e32 v4, s25
	s_sub_u32 s0, 0, s24
	s_subb_u32 s26, 0, s25
	v_fmac_f32_e32 v3, 0x4f800000, v4
	v_rcp_f32_e32 v3, v3
	v_mul_f32_e32 v3, 0x5f7ffffc, v3
	v_mul_f32_e32 v4, 0x2f800000, v3
	v_trunc_f32_e32 v4, v4
	v_fmac_f32_e32 v3, 0xcf800000, v4
	v_cvt_u32_f32_e32 v4, v4
	v_cvt_u32_f32_e32 v3, v3
	v_mul_lo_u32 v6, s0, v4
	v_mul_hi_u32 v9, s0, v3
	v_mul_lo_u32 v10, s26, v3
	v_add_nc_u32_e32 v6, v9, v6
	v_mul_lo_u32 v9, s0, v3
	v_add_nc_u32_e32 v6, v6, v10
	v_mul_hi_u32 v10, v3, v9
	v_mul_lo_u32 v11, v3, v6
	v_mul_hi_u32 v12, v3, v6
	v_mul_hi_u32 v13, v4, v9
	v_mul_lo_u32 v9, v4, v9
	v_mul_hi_u32 v14, v4, v6
	v_mul_lo_u32 v6, v4, v6
	v_add_co_u32 v10, vcc_lo, v10, v11
	v_add_co_ci_u32_e32 v11, vcc_lo, 0, v12, vcc_lo
	v_add_co_u32 v9, vcc_lo, v10, v9
	v_add_co_ci_u32_e32 v9, vcc_lo, v11, v13, vcc_lo
	v_add_co_ci_u32_e32 v10, vcc_lo, 0, v14, vcc_lo
	v_add_co_u32 v6, vcc_lo, v9, v6
	v_add_co_ci_u32_e32 v9, vcc_lo, 0, v10, vcc_lo
	v_add_co_u32 v3, vcc_lo, v3, v6
	v_add_co_ci_u32_e32 v4, vcc_lo, v4, v9, vcc_lo
	v_mul_hi_u32 v6, s0, v3
	v_mul_lo_u32 v10, s26, v3
	v_mul_lo_u32 v9, s0, v4
	v_add_nc_u32_e32 v6, v6, v9
	v_mul_lo_u32 v9, s0, v3
	v_add_nc_u32_e32 v6, v6, v10
	v_mul_hi_u32 v10, v3, v9
	v_mul_lo_u32 v11, v3, v6
	v_mul_hi_u32 v12, v3, v6
	v_mul_hi_u32 v13, v4, v9
	v_mul_lo_u32 v9, v4, v9
	v_mul_hi_u32 v14, v4, v6
	v_mul_lo_u32 v6, v4, v6
	v_add_co_u32 v10, vcc_lo, v10, v11
	v_add_co_ci_u32_e32 v11, vcc_lo, 0, v12, vcc_lo
	v_add_co_u32 v9, vcc_lo, v10, v9
	v_add_co_ci_u32_e32 v9, vcc_lo, v11, v13, vcc_lo
	v_add_co_ci_u32_e32 v10, vcc_lo, 0, v14, vcc_lo
	v_add_co_u32 v6, vcc_lo, v9, v6
	v_add_co_ci_u32_e32 v9, vcc_lo, 0, v10, vcc_lo
	v_add_co_u32 v6, vcc_lo, v3, v6
	v_add_co_ci_u32_e32 v11, vcc_lo, v4, v9, vcc_lo
	v_mul_hi_u32 v13, v7, v6
	v_mad_u64_u32 v[9:10], null, v8, v6, 0
	v_mad_u64_u32 v[3:4], null, v7, v11, 0
	;; [unrolled: 1-line block ×3, first 2 shown]
	v_add_co_u32 v3, vcc_lo, v13, v3
	v_add_co_ci_u32_e32 v4, vcc_lo, 0, v4, vcc_lo
	v_add_co_u32 v3, vcc_lo, v3, v9
	v_add_co_ci_u32_e32 v3, vcc_lo, v4, v10, vcc_lo
	v_add_co_ci_u32_e32 v4, vcc_lo, 0, v12, vcc_lo
	v_add_co_u32 v6, vcc_lo, v3, v11
	v_add_co_ci_u32_e32 v9, vcc_lo, 0, v4, vcc_lo
	v_mul_lo_u32 v10, s25, v6
	v_mad_u64_u32 v[3:4], null, s24, v6, 0
	v_mul_lo_u32 v11, s24, v9
	v_sub_co_u32 v3, vcc_lo, v7, v3
	v_add3_u32 v4, v4, v11, v10
	v_sub_nc_u32_e32 v10, v8, v4
	v_subrev_co_ci_u32_e64 v10, s0, s25, v10, vcc_lo
	v_add_co_u32 v11, s0, v6, 2
	v_add_co_ci_u32_e64 v12, s0, 0, v9, s0
	v_sub_co_u32 v13, s0, v3, s24
	v_sub_co_ci_u32_e32 v4, vcc_lo, v8, v4, vcc_lo
	v_subrev_co_ci_u32_e64 v10, s0, 0, v10, s0
	v_cmp_le_u32_e32 vcc_lo, s24, v13
	v_cmp_eq_u32_e64 s0, s25, v4
	v_cndmask_b32_e64 v13, 0, -1, vcc_lo
	v_cmp_le_u32_e32 vcc_lo, s25, v10
	v_cndmask_b32_e64 v14, 0, -1, vcc_lo
	v_cmp_le_u32_e32 vcc_lo, s24, v3
	;; [unrolled: 2-line block ×3, first 2 shown]
	v_cndmask_b32_e64 v15, 0, -1, vcc_lo
	v_cmp_eq_u32_e32 vcc_lo, s25, v10
	v_cndmask_b32_e64 v3, v15, v3, s0
	v_cndmask_b32_e32 v10, v14, v13, vcc_lo
	v_add_co_u32 v13, vcc_lo, v6, 1
	v_add_co_ci_u32_e32 v14, vcc_lo, 0, v9, vcc_lo
	v_cmp_ne_u32_e32 vcc_lo, 0, v10
	v_cndmask_b32_e32 v4, v14, v12, vcc_lo
	v_cndmask_b32_e32 v10, v13, v11, vcc_lo
	v_cmp_ne_u32_e32 vcc_lo, 0, v3
	v_cndmask_b32_e32 v4, v9, v4, vcc_lo
	v_cndmask_b32_e32 v3, v6, v10, vcc_lo
.LBB0_4:                                ;   in Loop: Header=BB0_2 Depth=1
	s_andn2_saveexec_b32 s0, s1
	s_cbranch_execz .LBB0_6
; %bb.5:                                ;   in Loop: Header=BB0_2 Depth=1
	v_cvt_f32_u32_e32 v3, s24
	s_sub_i32 s1, 0, s24
	v_rcp_iflag_f32_e32 v3, v3
	v_mul_f32_e32 v3, 0x4f7ffffe, v3
	v_cvt_u32_f32_e32 v3, v3
	v_mul_lo_u32 v4, s1, v3
	v_mul_hi_u32 v4, v3, v4
	v_add_nc_u32_e32 v3, v3, v4
	v_mul_hi_u32 v3, v7, v3
	v_mul_lo_u32 v4, v3, s24
	v_add_nc_u32_e32 v6, 1, v3
	v_sub_nc_u32_e32 v4, v7, v4
	v_subrev_nc_u32_e32 v9, s24, v4
	v_cmp_le_u32_e32 vcc_lo, s24, v4
	v_cndmask_b32_e32 v4, v4, v9, vcc_lo
	v_cndmask_b32_e32 v3, v3, v6, vcc_lo
	v_cmp_le_u32_e32 vcc_lo, s24, v4
	v_add_nc_u32_e32 v6, 1, v3
	v_mov_b32_e32 v4, v5
	v_cndmask_b32_e32 v3, v3, v6, vcc_lo
.LBB0_6:                                ;   in Loop: Header=BB0_2 Depth=1
	s_or_b32 exec_lo, exec_lo, s0
	v_mul_lo_u32 v6, v4, s24
	v_mul_lo_u32 v11, v3, s25
	s_load_dwordx2 s[0:1], s[6:7], 0x0
	v_mad_u64_u32 v[9:10], null, v3, s24, 0
	s_load_dwordx2 s[24:25], s[2:3], 0x0
	s_add_u32 s22, s22, 1
	s_addc_u32 s23, s23, 0
	s_add_u32 s2, s2, 8
	s_addc_u32 s3, s3, 0
	s_add_u32 s6, s6, 8
	v_add3_u32 v6, v10, v11, v6
	v_sub_co_u32 v7, vcc_lo, v7, v9
	s_addc_u32 s7, s7, 0
	s_add_u32 s20, s20, 8
	v_sub_co_ci_u32_e32 v6, vcc_lo, v8, v6, vcc_lo
	s_addc_u32 s21, s21, 0
	s_waitcnt lgkmcnt(0)
	v_mul_lo_u32 v8, s0, v6
	v_mul_lo_u32 v9, s1, v7
	v_mad_u64_u32 v[77:78], null, s0, v7, v[77:78]
	v_mul_lo_u32 v6, s24, v6
	v_mul_lo_u32 v10, s25, v7
	v_mad_u64_u32 v[1:2], null, s24, v7, v[1:2]
	v_cmp_ge_u64_e64 s0, s[22:23], s[14:15]
	v_add3_u32 v78, v9, v78, v8
	v_add3_u32 v2, v10, v2, v6
	s_and_b32 vcc_lo, exec_lo, s0
	s_cbranch_vccnz .LBB0_8
; %bb.7:                                ;   in Loop: Header=BB0_2 Depth=1
	v_mov_b32_e32 v8, v4
	v_mov_b32_e32 v7, v3
	s_branch .LBB0_2
.LBB0_8:
	s_load_dwordx2 s[0:1], s[4:5], 0x28
	v_mul_hi_u32 v5, 0xf0f0f10, v0
	s_lshl_b64 s[4:5], s[14:15], 3
                                        ; implicit-def: $sgpr6
                                        ; implicit-def: $vgpr80
	s_add_u32 s2, s18, s4
	s_addc_u32 s3, s19, s5
	s_waitcnt lgkmcnt(0)
	v_cmp_gt_u64_e32 vcc_lo, s[0:1], v[3:4]
	v_cmp_le_u64_e64 s0, s[0:1], v[3:4]
	s_and_saveexec_b32 s1, s0
	s_xor_b32 s0, exec_lo, s1
; %bb.9:
	v_mul_u32_u24_e32 v5, 17, v5
	s_mov_b32 s6, 0
                                        ; implicit-def: $vgpr77_vgpr78
	v_sub_nc_u32_e32 v80, v0, v5
                                        ; implicit-def: $vgpr5
                                        ; implicit-def: $vgpr0
; %bb.10:
	s_or_saveexec_b32 s1, s0
	s_load_dwordx2 s[2:3], s[2:3], 0x0
	v_mov_b32_e32 v26, s6
	v_mov_b32_e32 v74, s6
                                        ; implicit-def: $vgpr64
                                        ; implicit-def: $vgpr72
                                        ; implicit-def: $vgpr70
                                        ; implicit-def: $vgpr60
                                        ; implicit-def: $vgpr56
                                        ; implicit-def: $vgpr52
                                        ; implicit-def: $vgpr48
                                        ; implicit-def: $vgpr44
                                        ; implicit-def: $vgpr40
                                        ; implicit-def: $vgpr42
                                        ; implicit-def: $vgpr50
                                        ; implicit-def: $vgpr62
                                        ; implicit-def: $vgpr68
                                        ; implicit-def: $vgpr66
                                        ; implicit-def: $vgpr38
                                        ; implicit-def: $vgpr36
                                        ; implicit-def: $vgpr28
                                        ; implicit-def: $vgpr22
                                        ; implicit-def: $vgpr18
                                        ; implicit-def: $vgpr14
                                        ; implicit-def: $vgpr10
                                        ; implicit-def: $vgpr6
                                        ; implicit-def: $vgpr34
                                        ; implicit-def: $vgpr32
                                        ; implicit-def: $vgpr30
                                        ; implicit-def: $vgpr24
                                        ; implicit-def: $vgpr20
                                        ; implicit-def: $vgpr16
                                        ; implicit-def: $vgpr12
                                        ; implicit-def: $vgpr8
                                        ; implicit-def: $vgpr58
                                        ; implicit-def: $vgpr54
                                        ; implicit-def: $vgpr46
	s_xor_b32 exec_lo, exec_lo, s1
	s_cbranch_execz .LBB0_14
; %bb.11:
	s_add_u32 s4, s16, s4
	s_addc_u32 s5, s17, s5
	v_mov_b32_e32 v74, 0
	s_load_dwordx2 s[4:5], s[4:5], 0x0
	v_mov_b32_e32 v26, 0
                                        ; implicit-def: $vgpr11
                                        ; implicit-def: $vgpr15
                                        ; implicit-def: $vgpr19
                                        ; implicit-def: $vgpr23
                                        ; implicit-def: $vgpr29
                                        ; implicit-def: $vgpr31
                                        ; implicit-def: $vgpr33
                                        ; implicit-def: $vgpr13
                                        ; implicit-def: $vgpr17
                                        ; implicit-def: $vgpr21
                                        ; implicit-def: $vgpr27
                                        ; implicit-def: $vgpr35
                                        ; implicit-def: $vgpr37
	s_waitcnt lgkmcnt(0)
	v_mul_lo_u32 v8, s5, v3
	v_mul_lo_u32 v9, s4, v4
	v_mad_u64_u32 v[6:7], null, s4, v3, 0
	s_mov_b32 s4, exec_lo
	v_add3_u32 v7, v7, v9, v8
	v_mul_u32_u24_e32 v9, 17, v5
	v_lshlrev_b64 v[5:6], 3, v[6:7]
	v_lshlrev_b64 v[7:8], 3, v[77:78]
	v_sub_nc_u32_e32 v80, v0, v9
	v_add_co_u32 v0, s0, s8, v5
	v_add_co_ci_u32_e64 v5, s0, s9, v6, s0
	v_lshlrev_b32_e32 v9, 3, v80
	v_add_co_u32 v0, s0, v0, v7
	v_add_co_ci_u32_e64 v6, s0, v5, v8, s0
                                        ; implicit-def: $vgpr7
                                        ; implicit-def: $vgpr5
	v_add_co_u32 v76, s0, v0, v9
	v_add_co_ci_u32_e64 v77, s0, 0, v6, s0
                                        ; implicit-def: $vgpr9
	s_clause 0x7
	global_load_dwordx2 v[63:64], v[76:77], off
	global_load_dwordx2 v[71:72], v[76:77], off offset:168
	global_load_dwordx2 v[69:70], v[76:77], off offset:336
	;; [unrolled: 1-line block ×7, first 2 shown]
	v_add_co_u32 v78, s0, 0x800, v76
	v_add_co_ci_u32_e64 v79, s0, 0, v77, s0
	s_clause 0x8
	global_load_dwordx2 v[39:40], v[76:77], off offset:1344
	global_load_dwordx2 v[41:42], v[76:77], off offset:1512
	;; [unrolled: 1-line block ×9, first 2 shown]
	v_cmpx_gt_u32_e32 4, v80
	s_cbranch_execz .LBB0_13
; %bb.12:
	v_or_b32_e32 v73, 0x14c, v80
	s_clause 0x7
	global_load_dwordx2 v[25:26], v[76:77], off offset:136
	global_load_dwordx2 v[37:38], v[76:77], off offset:304
	;; [unrolled: 1-line block ×8, first 2 shown]
	v_lshlrev_b64 v[7:8], 3, v[73:74]
	v_add_co_u32 v19, s0, v0, v7
	v_add_co_ci_u32_e64 v20, s0, v6, v8, s0
	s_clause 0x8
	global_load_dwordx2 v[5:6], v[76:77], off offset:1480
	global_load_dwordx2 v[7:8], v[76:77], off offset:1648
	global_load_dwordx2 v[11:12], v[76:77], off offset:1816
	global_load_dwordx2 v[15:16], v[76:77], off offset:1984
	global_load_dwordx2 v[31:32], v[19:20], off
	global_load_dwordx2 v[19:20], v[78:79], off offset:104
	global_load_dwordx2 v[23:24], v[78:79], off offset:272
	;; [unrolled: 1-line block ×4, first 2 shown]
	s_waitcnt vmcnt(16)
	v_mov_b32_e32 v74, v25
.LBB0_13:
	s_or_b32 exec_lo, exec_lo, s4
.LBB0_14:
	s_or_b32 exec_lo, exec_lo, s1
	s_waitcnt vmcnt(15)
	v_add_f32_e32 v0, v63, v71
	v_mul_hi_u32 v25, 0xba2e8ba3, v75
	s_waitcnt vmcnt(0)
	v_sub_f32_e32 v73, v72, v66
	v_add_f32_e32 v76, v71, v65
	v_sub_f32_e32 v78, v70, v68
	v_add_f32_e32 v0, v0, v69
	v_add_f32_e32 v77, v69, v67
	v_mul_f32_e32 v79, 0xbeb8f4ab, v73
	v_mul_f32_e32 v81, 0xbf2c7751, v73
	v_lshrrev_b32_e32 v25, 3, v25
	v_add_f32_e32 v0, v0, v59
	v_mul_f32_e32 v82, 0xbf65296c, v73
	v_mul_f32_e32 v83, 0xbf7ee86f, v73
	;; [unrolled: 1-line block ×4, first 2 shown]
	v_add_f32_e32 v0, v0, v55
	v_mul_f32_e32 v86, 0xbf06c442, v73
	v_mul_f32_e32 v73, 0xbe3c28d5, v73
	;; [unrolled: 1-line block ×4, first 2 shown]
	v_add_f32_e32 v0, v0, v51
	v_fmamk_f32 v91, v76, 0x3f6eb680, v79
	v_fma_f32 v79, 0x3f6eb680, v76, -v79
	v_fmamk_f32 v92, v76, 0x3f3d2fb0, v81
	v_fma_f32 v81, 0x3f3d2fb0, v76, -v81
	v_add_f32_e32 v0, v0, v47
	v_mul_lo_u32 v25, v25, 11
	v_mul_f32_e32 v89, 0xbf4c4adb, v78
	v_fmamk_f32 v93, v76, 0x3ee437d1, v82
	v_fma_f32 v82, 0x3ee437d1, v76, -v82
	v_add_f32_e32 v0, v0, v43
	v_fmamk_f32 v94, v76, 0x3dbcf732, v83
	v_fma_f32 v83, 0x3dbcf732, v76, -v83
	v_fmamk_f32 v95, v76, 0xbe8c1d8e, v84
	v_fma_f32 v84, 0xbe8c1d8e, v76, -v84
	v_add_f32_e32 v0, v0, v39
	v_fmamk_f32 v96, v76, 0xbf1a4643, v85
	v_fma_f32 v85, 0xbf1a4643, v76, -v85
	v_fmamk_f32 v97, v76, 0xbf59a7d5, v86
	v_fma_f32 v86, 0xbf59a7d5, v76, -v86
	v_add_f32_e32 v0, v0, v41
	v_fmamk_f32 v98, v76, 0xbf7ba420, v73
	v_fma_f32 v73, 0xbf7ba420, v76, -v73
	v_fmamk_f32 v76, v77, 0x3f3d2fb0, v87
	v_fma_f32 v87, 0x3f3d2fb0, v77, -v87
	v_add_f32_e32 v0, v0, v45
	v_fmamk_f32 v99, v77, 0x3dbcf732, v88
	v_fma_f32 v88, 0x3dbcf732, v77, -v88
	v_add_f32_e32 v79, v79, v63
	v_add_f32_e32 v81, v81, v63
	;; [unrolled: 1-line block ×3, first 2 shown]
	v_mul_f32_e32 v90, 0xbe3c28d5, v78
	v_add_f32_e32 v82, v82, v63
	v_sub_nc_u32_e32 v25, v75, v25
	v_add_f32_e32 v75, v87, v79
	v_add_f32_e32 v0, v53, v0
	;; [unrolled: 1-line block ×3, first 2 shown]
	v_fma_f32 v81, 0xbf1a4643, v77, -v89
	v_add_f32_e32 v83, v83, v63
	v_fmamk_f32 v88, v77, 0xbf7ba420, v90
	v_add_f32_e32 v0, v57, v0
	v_fma_f32 v90, 0xbf7ba420, v77, -v90
	v_add_f32_e32 v81, v81, v82
	v_mul_f32_e32 v82, 0x3f763a35, v78
	v_fmamk_f32 v100, v77, 0xbf1a4643, v89
	v_add_f32_e32 v0, v0, v61
	v_add_f32_e32 v91, v91, v63
	;; [unrolled: 1-line block ×4, first 2 shown]
	v_mul_f32_e32 v89, 0x3f06c442, v78
	v_add_f32_e32 v0, v0, v67
	v_add_f32_e32 v83, v90, v83
	v_fmamk_f32 v90, v77, 0xbe8c1d8e, v82
	v_fma_f32 v82, 0xbe8c1d8e, v77, -v82
	v_add_f32_e32 v93, v93, v63
	v_add_f32_e32 v94, v94, v63
	;; [unrolled: 1-line block ×12, first 2 shown]
	v_fmamk_f32 v91, v77, 0xbf59a7d5, v89
	v_fma_f32 v89, 0xbf59a7d5, v77, -v89
	v_mul_f32_e32 v92, 0x3f65296c, v78
	v_mul_f32_e32 v78, 0x3eb8f4ab, v78
	v_add_f32_e32 v82, v82, v85
	v_sub_f32_e32 v85, v60, v62
	v_add_f32_e32 v87, v100, v93
	v_add_f32_e32 v88, v88, v94
	;; [unrolled: 1-line block ×5, first 2 shown]
	v_fmamk_f32 v90, v77, 0x3ee437d1, v92
	v_fma_f32 v92, 0x3ee437d1, v77, -v92
	v_fmamk_f32 v93, v77, 0x3f6eb680, v78
	v_add_f32_e32 v94, v59, v61
	v_mul_f32_e32 v95, 0xbf65296c, v85
	v_fma_f32 v77, 0x3f6eb680, v77, -v78
	v_add_f32_e32 v86, v92, v86
	v_add_f32_e32 v78, v93, v98
	v_mul_f32_e32 v92, 0xbf4c4adb, v85
	v_fmamk_f32 v93, v94, 0x3ee437d1, v95
	v_fma_f32 v95, 0x3ee437d1, v94, -v95
	v_add_f32_e32 v63, v77, v63
	v_mul_f32_e32 v77, 0x3e3c28d5, v85
	v_fmamk_f32 v96, v94, 0xbf1a4643, v92
	v_add_f32_e32 v73, v93, v73
	v_add_f32_e32 v75, v95, v75
	v_fma_f32 v92, 0xbf1a4643, v94, -v92
	v_fmamk_f32 v93, v94, 0xbf7ba420, v77
	v_mul_f32_e32 v95, 0x3f763a35, v85
	v_fma_f32 v77, 0xbf7ba420, v94, -v77
	v_add_f32_e32 v0, v96, v0
	v_add_f32_e32 v79, v92, v79
	;; [unrolled: 1-line block ×3, first 2 shown]
	v_mul_f32_e32 v92, 0x3f2c7751, v85
	v_fmamk_f32 v93, v94, 0xbe8c1d8e, v95
	v_add_f32_e32 v77, v77, v81
	v_fma_f32 v81, 0xbe8c1d8e, v94, -v95
	v_mul_f32_e32 v95, 0xbeb8f4ab, v85
	v_fmamk_f32 v96, v94, 0x3f3d2fb0, v92
	v_fma_f32 v92, 0x3f3d2fb0, v94, -v92
	v_add_f32_e32 v88, v93, v88
	v_add_f32_e32 v81, v81, v83
	v_fmamk_f32 v83, v94, 0x3f6eb680, v95
	v_fma_f32 v93, 0x3f6eb680, v94, -v95
	v_add_f32_e32 v84, v92, v84
	v_mul_f32_e32 v92, 0xbf7ee86f, v85
	v_mul_f32_e32 v85, 0xbf06c442, v85
	v_add_f32_e32 v83, v83, v89
	v_sub_f32_e32 v89, v56, v58
	v_add_f32_e32 v90, v90, v97
	v_add_f32_e32 v91, v96, v91
	;; [unrolled: 1-line block ×3, first 2 shown]
	v_fmamk_f32 v93, v94, 0x3dbcf732, v92
	v_fma_f32 v92, 0x3dbcf732, v94, -v92
	v_fmamk_f32 v95, v94, 0xbf59a7d5, v85
	v_add_f32_e32 v96, v57, v55
	v_mul_f32_e32 v97, 0xbf7ee86f, v89
	v_fma_f32 v85, 0xbf59a7d5, v94, -v85
	v_add_f32_e32 v90, v93, v90
	v_add_f32_e32 v86, v92, v86
	v_mul_f32_e32 v93, 0xbe3c28d5, v89
	v_fmamk_f32 v92, v96, 0x3dbcf732, v97
	v_add_f32_e32 v63, v85, v63
	v_fma_f32 v85, 0x3dbcf732, v96, -v97
	v_mul_f32_e32 v94, 0x3f763a35, v89
	v_add_f32_e32 v78, v95, v78
	v_add_f32_e32 v73, v73, v92
	v_fmamk_f32 v92, v96, 0xbf7ba420, v93
	v_fma_f32 v93, 0xbf7ba420, v96, -v93
	v_add_f32_e32 v75, v75, v85
	v_fmamk_f32 v85, v96, 0xbe8c1d8e, v94
	v_mul_f32_e32 v95, 0x3eb8f4ab, v89
	v_add_f32_e32 v0, v0, v92
	v_add_f32_e32 v79, v79, v93
	v_fma_f32 v92, 0xbe8c1d8e, v96, -v94
	v_add_f32_e32 v85, v87, v85
	v_fmamk_f32 v87, v96, 0x3f6eb680, v95
	v_mul_f32_e32 v93, 0xbf65296c, v89
	v_fma_f32 v94, 0x3f6eb680, v96, -v95
	v_add_f32_e32 v77, v77, v92
	v_mul_f32_e32 v92, 0xbf06c442, v89
	v_add_f32_e32 v87, v88, v87
	v_fmamk_f32 v88, v96, 0x3ee437d1, v93
	v_mul_f32_e32 v95, 0x3f4c4adb, v89
	v_add_f32_e32 v81, v81, v94
	v_fma_f32 v93, 0x3ee437d1, v96, -v93
	v_fmamk_f32 v94, v96, 0xbf59a7d5, v92
	v_add_f32_e32 v88, v91, v88
	v_fma_f32 v91, 0xbf59a7d5, v96, -v92
	v_fmamk_f32 v92, v96, 0xbf1a4643, v95
	v_mul_f32_e32 v89, 0x3f2c7751, v89
	v_add_f32_e32 v84, v84, v93
	v_add_f32_e32 v83, v83, v94
	;; [unrolled: 1-line block ×3, first 2 shown]
	v_sub_f32_e32 v91, v52, v54
	v_fma_f32 v93, 0xbf1a4643, v96, -v95
	v_add_f32_e32 v90, v90, v92
	v_fmamk_f32 v92, v96, 0x3f3d2fb0, v89
	v_add_f32_e32 v94, v53, v51
	v_mul_f32_e32 v95, 0xbf763a35, v91
	v_fma_f32 v89, 0x3f3d2fb0, v96, -v89
	v_add_f32_e32 v86, v86, v93
	v_add_f32_e32 v78, v78, v92
	v_mul_f32_e32 v92, 0x3f06c442, v91
	v_fmamk_f32 v93, v94, 0xbe8c1d8e, v95
	v_fma_f32 v95, 0xbe8c1d8e, v94, -v95
	v_add_f32_e32 v63, v63, v89
	v_mul_f32_e32 v89, 0x3f2c7751, v91
	v_fmamk_f32 v96, v94, 0xbf59a7d5, v92
	v_add_f32_e32 v73, v73, v93
	v_add_f32_e32 v75, v75, v95
	v_fma_f32 v92, 0xbf59a7d5, v94, -v92
	v_fmamk_f32 v93, v94, 0x3f3d2fb0, v89
	v_mul_f32_e32 v95, 0xbf65296c, v91
	v_fma_f32 v89, 0x3f3d2fb0, v94, -v89
	v_add_f32_e32 v0, v0, v96
	v_add_f32_e32 v79, v79, v92
	v_add_f32_e32 v85, v85, v93
	v_mul_f32_e32 v92, 0xbe3c28d5, v91
	v_fmamk_f32 v93, v94, 0x3ee437d1, v95
	v_add_f32_e32 v77, v77, v89
	v_fma_f32 v89, 0x3ee437d1, v94, -v95
	v_mul_f32_e32 v95, 0x3f7ee86f, v91
	v_fmamk_f32 v96, v94, 0xbf7ba420, v92
	v_fma_f32 v92, 0xbf7ba420, v94, -v92
	v_add_f32_e32 v87, v87, v93
	v_add_f32_e32 v81, v81, v89
	v_fmamk_f32 v89, v94, 0x3dbcf732, v95
	v_fma_f32 v93, 0x3dbcf732, v94, -v95
	v_add_f32_e32 v84, v84, v92
	v_mul_f32_e32 v92, 0xbeb8f4ab, v91
	v_add_f32_e32 v88, v88, v96
	v_add_f32_e32 v83, v83, v89
	v_mul_f32_e32 v89, 0xbf4c4adb, v91
	v_sub_f32_e32 v91, v48, v50
	v_add_f32_e32 v82, v82, v93
	v_fmamk_f32 v93, v94, 0x3f6eb680, v92
	v_fma_f32 v92, 0x3f6eb680, v94, -v92
	v_fmamk_f32 v95, v94, 0xbf1a4643, v89
	v_add_f32_e32 v96, v47, v49
	v_mul_f32_e32 v97, 0xbf4c4adb, v91
	v_fma_f32 v89, 0xbf1a4643, v94, -v89
	v_add_f32_e32 v90, v90, v93
	v_add_f32_e32 v86, v86, v92
	v_mul_f32_e32 v93, 0x3f763a35, v91
	v_fmamk_f32 v92, v96, 0xbf1a4643, v97
	v_add_f32_e32 v63, v63, v89
	v_fma_f32 v89, 0xbf1a4643, v96, -v97
	v_mul_f32_e32 v94, 0xbeb8f4ab, v91
	v_add_f32_e32 v78, v78, v95
	v_add_f32_e32 v73, v92, v73
	v_fmamk_f32 v92, v96, 0xbe8c1d8e, v93
	v_fma_f32 v93, 0xbe8c1d8e, v96, -v93
	v_add_f32_e32 v75, v89, v75
	v_fmamk_f32 v89, v96, 0x3f6eb680, v94
	v_mul_f32_e32 v95, 0xbf06c442, v91
	v_add_f32_e32 v0, v92, v0
	v_add_f32_e32 v79, v93, v79
	v_fma_f32 v92, 0x3f6eb680, v96, -v94
	v_add_f32_e32 v85, v89, v85
	v_fmamk_f32 v89, v96, 0xbf59a7d5, v95
	v_mul_f32_e32 v93, 0x3f7ee86f, v91
	v_fma_f32 v94, 0xbf59a7d5, v96, -v95
	v_add_f32_e32 v77, v92, v77
	v_mul_f32_e32 v92, 0xbf2c7751, v91
	v_add_f32_e32 v87, v89, v87
	v_fmamk_f32 v89, v96, 0x3dbcf732, v93
	v_mul_f32_e32 v95, 0xbe3c28d5, v91
	v_add_f32_e32 v81, v94, v81
	v_fma_f32 v93, 0x3dbcf732, v96, -v93
	v_fmamk_f32 v94, v96, 0x3f3d2fb0, v92
	v_add_f32_e32 v88, v89, v88
	v_fma_f32 v89, 0x3f3d2fb0, v96, -v92
	v_fmamk_f32 v92, v96, 0xbf7ba420, v95
	v_mul_f32_e32 v91, 0x3f65296c, v91
	v_add_f32_e32 v84, v93, v84
	v_add_f32_e32 v83, v94, v83
	;; [unrolled: 1-line block ×3, first 2 shown]
	v_sub_f32_e32 v89, v44, v46
	v_fma_f32 v93, 0xbf7ba420, v96, -v95
	v_add_f32_e32 v90, v92, v90
	v_fmamk_f32 v92, v96, 0x3ee437d1, v91
	v_add_f32_e32 v94, v45, v43
	v_mul_f32_e32 v95, 0xbf06c442, v89
	v_fma_f32 v91, 0x3ee437d1, v96, -v91
	v_add_f32_e32 v86, v93, v86
	v_add_f32_e32 v78, v92, v78
	v_mul_f32_e32 v92, 0x3f65296c, v89
	v_fmamk_f32 v93, v94, 0xbf59a7d5, v95
	v_fma_f32 v95, 0xbf59a7d5, v94, -v95
	v_add_f32_e32 v63, v91, v63
	v_mul_f32_e32 v91, 0xbf7ee86f, v89
	v_fmamk_f32 v96, v94, 0x3ee437d1, v92
	v_add_f32_e32 v73, v73, v93
	v_add_f32_e32 v75, v75, v95
	v_fma_f32 v92, 0x3ee437d1, v94, -v92
	v_fmamk_f32 v93, v94, 0x3dbcf732, v91
	v_mul_f32_e32 v95, 0x3f4c4adb, v89
	v_fma_f32 v91, 0x3dbcf732, v94, -v91
	v_add_f32_e32 v0, v0, v96
	v_add_f32_e32 v79, v79, v92
	;; [unrolled: 1-line block ×3, first 2 shown]
	v_mul_f32_e32 v92, 0xbeb8f4ab, v89
	v_fmamk_f32 v93, v94, 0xbf1a4643, v95
	v_add_f32_e32 v77, v77, v91
	v_fma_f32 v91, 0xbf1a4643, v94, -v95
	v_mul_f32_e32 v95, 0xbe3c28d5, v89
	v_fmamk_f32 v96, v94, 0x3f6eb680, v92
	v_fma_f32 v92, 0x3f6eb680, v94, -v92
	v_add_f32_e32 v87, v87, v93
	v_add_f32_e32 v81, v81, v91
	v_fmamk_f32 v91, v94, 0xbf7ba420, v95
	v_fma_f32 v93, 0xbf7ba420, v94, -v95
	v_add_f32_e32 v84, v84, v92
	v_mul_f32_e32 v92, 0x3f2c7751, v89
	v_add_f32_e32 v88, v88, v96
	v_add_f32_e32 v83, v83, v91
	v_sub_f32_e32 v91, v40, v42
	v_mul_f32_e32 v89, 0xbf763a35, v89
	v_add_f32_e32 v82, v82, v93
	v_fmamk_f32 v93, v94, 0x3f3d2fb0, v92
	v_fma_f32 v92, 0x3f3d2fb0, v94, -v92
	v_add_f32_e32 v96, v39, v41
	v_mul_f32_e32 v97, 0xbe3c28d5, v91
	v_fmamk_f32 v95, v94, 0xbe8c1d8e, v89
	v_add_f32_e32 v90, v90, v93
	v_add_f32_e32 v86, v86, v92
	v_fma_f32 v89, 0xbe8c1d8e, v94, -v89
	v_fmamk_f32 v92, v96, 0xbf7ba420, v97
	v_mul_f32_e32 v93, 0x3eb8f4ab, v91
	v_add_f32_e32 v78, v78, v95
	v_fma_f32 v94, 0xbf7ba420, v96, -v97
	v_add_f32_e32 v89, v63, v89
	v_mul_f32_e32 v63, 0xbf06c442, v91
	v_add_f32_e32 v73, v92, v73
	v_fmamk_f32 v92, v96, 0x3f6eb680, v93
	v_fma_f32 v93, 0x3f6eb680, v96, -v93
	v_mul_f32_e32 v95, 0x3f2c7751, v91
	v_add_f32_e32 v75, v94, v75
	v_fmamk_f32 v94, v96, 0xbf59a7d5, v63
	v_add_f32_e32 v92, v92, v0
	v_fma_f32 v0, 0xbf59a7d5, v96, -v63
	v_add_f32_e32 v79, v93, v79
	v_fmamk_f32 v63, v96, 0x3f3d2fb0, v95
	v_mul_f32_e32 v93, 0xbf4c4adb, v91
	v_mul_u32_u24_e32 v25, 0x165, v25
	v_add_f32_e32 v77, v0, v77
	v_mul_f32_e32 v0, 0x3f65296c, v91
	v_add_f32_e32 v85, v94, v85
	v_fma_f32 v94, 0x3f3d2fb0, v96, -v95
	v_add_f32_e32 v87, v63, v87
	v_fmamk_f32 v63, v96, 0xbf1a4643, v93
	v_fma_f32 v93, 0xbf1a4643, v96, -v93
	v_fmamk_f32 v95, v96, 0x3ee437d1, v0
	v_fma_f32 v0, 0x3ee437d1, v96, -v0
	v_add_f32_e32 v81, v94, v81
	v_add_f32_e32 v88, v63, v88
	;; [unrolled: 1-line block ×3, first 2 shown]
	v_mul_f32_e32 v63, 0xbf763a35, v91
	v_add_f32_e32 v82, v0, v82
	v_mul_u32_u24_e32 v93, 0x44, v80
	v_lshlrev_b32_e32 v0, 2, v25
	v_mul_f32_e32 v91, 0x3f7ee86f, v91
	v_fmamk_f32 v25, v96, 0xbe8c1d8e, v63
	v_fma_f32 v94, 0xbe8c1d8e, v96, -v63
	v_add_f32_e32 v83, v95, v83
	v_add3_u32 v63, 0, v93, v0
	v_fmamk_f32 v95, v96, 0x3dbcf732, v91
	v_fma_f32 v91, 0x3dbcf732, v96, -v91
	ds_write2_b32 v63, v76, v73 offset1:1
	ds_write2_b32 v63, v92, v85 offset0:2 offset1:3
	v_add_nc_u32_e32 v73, 17, v80
	v_add_f32_e32 v25, v25, v90
	v_add_f32_e32 v78, v95, v78
	;; [unrolled: 1-line block ×4, first 2 shown]
	ds_write2_b32 v63, v87, v88 offset0:4 offset1:5
	ds_write2_b32 v63, v83, v25 offset0:6 offset1:7
	;; [unrolled: 1-line block ×3, first 2 shown]
	v_cmp_gt_u32_e64 s0, 4, v80
	v_mul_u32_u24_e32 v25, 0x44, v73
	ds_write2_b32 v63, v86, v82 offset0:10 offset1:11
	ds_write2_b32 v63, v84, v81 offset0:12 offset1:13
	;; [unrolled: 1-line block ×3, first 2 shown]
	ds_write_b32 v63, v75 offset:64
	s_and_saveexec_b32 s1, s0
	s_cbranch_execz .LBB0_16
; %bb.15:
	v_add_f32_e32 v83, v37, v33
	v_sub_f32_e32 v78, v38, v34
	v_add_f32_e32 v86, v35, v31
	v_sub_f32_e32 v76, v36, v32
	v_add_f32_e32 v84, v27, v29
	v_mul_f32_e32 v90, 0xbf7ba420, v83
	v_sub_f32_e32 v77, v28, v30
	v_mul_f32_e32 v91, 0x3f6eb680, v86
	v_add_f32_e32 v82, v21, v23
	v_mul_f32_e32 v92, 0xbf59a7d5, v84
	v_fmamk_f32 v79, v78, 0x3e3c28d5, v90
	v_sub_f32_e32 v73, v22, v24
	v_fmamk_f32 v81, v76, 0xbeb8f4ab, v91
	v_add_f32_e32 v85, v17, v19
	v_mul_f32_e32 v93, 0x3f3d2fb0, v82
	v_add_f32_e32 v88, v74, v79
	v_fmamk_f32 v89, v77, 0x3f06c442, v92
	v_sub_f32_e32 v75, v18, v20
	v_add_f32_e32 v87, v13, v15
	v_mul_f32_e32 v95, 0xbf1a4643, v85
	v_add_f32_e32 v94, v88, v81
	v_fmamk_f32 v96, v73, 0xbf2c7751, v93
	v_sub_f32_e32 v79, v14, v16
	v_add_f32_e32 v88, v9, v11
	v_mul_f32_e32 v97, 0x3ee437d1, v87
	v_add_f32_e32 v94, v94, v89
	v_fmamk_f32 v98, v75, 0x3f4c4adb, v95
	v_fmac_f32_e32 v90, 0xbe3c28d5, v78
	v_sub_f32_e32 v81, v10, v12
	v_fmamk_f32 v99, v79, 0xbf65296c, v97
	v_add_f32_e32 v94, v94, v96
	v_mul_f32_e32 v96, 0xbe8c1d8e, v88
	v_fmac_f32_e32 v91, 0x3eb8f4ab, v76
	v_add_f32_e32 v90, v74, v90
	v_add_f32_e32 v89, v5, v7
	;; [unrolled: 1-line block ×3, first 2 shown]
	v_mul_f32_e32 v98, 0xbf59a7d5, v83
	v_fmamk_f32 v100, v81, 0x3f763a35, v96
	v_fmac_f32_e32 v92, 0xbf06c442, v77
	v_add_f32_e32 v90, v90, v91
	v_add_f32_e32 v91, v94, v99
	v_mul_f32_e32 v99, 0x3ee437d1, v86
	v_fmamk_f32 v101, v78, 0x3f06c442, v98
	v_mul_f32_e32 v94, 0x3dbcf732, v89
	v_add_f32_e32 v92, v90, v92
	v_add_f32_e32 v91, v91, v100
	v_fmac_f32_e32 v93, 0x3f2c7751, v73
	v_sub_f32_e32 v90, v6, v8
	v_add_f32_e32 v100, v74, v101
	v_fmamk_f32 v101, v76, 0xbf65296c, v99
	v_mul_f32_e32 v102, 0x3dbcf732, v84
	v_add_f32_e32 v92, v92, v93
	v_fmac_f32_e32 v95, 0xbf4c4adb, v75
	v_fmamk_f32 v93, v90, 0xbf7ee86f, v94
	v_add_f32_e32 v100, v100, v101
	v_fmamk_f32 v101, v77, 0x3f7ee86f, v102
	v_mul_f32_e32 v103, 0xbf1a4643, v82
	v_add_f32_e32 v92, v92, v95
	v_fmac_f32_e32 v97, 0x3f65296c, v79
	v_add_f32_e32 v91, v91, v93
	v_add_f32_e32 v93, v100, v101
	v_fmamk_f32 v95, v73, 0xbf4c4adb, v103
	v_mul_f32_e32 v100, 0x3f6eb680, v85
	v_add_f32_e32 v92, v92, v97
	v_fmac_f32_e32 v98, 0xbf06c442, v78
	v_fmac_f32_e32 v96, 0xbf763a35, v81
	v_add_f32_e32 v93, v93, v95
	v_fmamk_f32 v95, v75, 0x3eb8f4ab, v100
	v_mul_f32_e32 v97, 0xbf7ba420, v87
	v_add_f32_e32 v98, v74, v98
	v_fmac_f32_e32 v99, 0x3f65296c, v76
	v_add_f32_e32 v92, v92, v96
	v_add_f32_e32 v93, v93, v95
	v_fmamk_f32 v95, v79, 0x3e3c28d5, v97
	v_mul_f32_e32 v96, 0x3f3d2fb0, v88
	v_add_f32_e32 v98, v98, v99
	v_fmac_f32_e32 v102, 0xbf7ee86f, v77
	v_fmac_f32_e32 v94, 0x3f7ee86f, v90
	v_add_f32_e32 v93, v93, v95
	v_fmamk_f32 v95, v81, 0xbf2c7751, v96
	v_mul_f32_e32 v99, 0xbf1a4643, v83
	v_add_f32_e32 v98, v98, v102
	v_fmac_f32_e32 v103, 0x3f4c4adb, v73
	v_add_f32_e32 v92, v92, v94
	v_add_f32_e32 v93, v93, v95
	v_fmamk_f32 v94, v78, 0x3f4c4adb, v99
	v_mul_f32_e32 v95, 0xbe8c1d8e, v86
	v_add_f32_e32 v98, v98, v103
	v_fmac_f32_e32 v100, 0xbeb8f4ab, v75
	v_mul_f32_e32 v101, 0xbe8c1d8e, v89
	v_add_f32_e32 v94, v74, v94
	v_fmamk_f32 v102, v76, 0xbf763a35, v95
	v_mul_f32_e32 v103, 0x3f6eb680, v84
	v_add_f32_e32 v98, v98, v100
	v_fmac_f32_e32 v97, 0xbe3c28d5, v79
	v_fmamk_f32 v100, v90, 0x3f763a35, v101
	v_add_f32_e32 v94, v94, v102
	v_fmamk_f32 v102, v77, 0x3eb8f4ab, v103
	v_mul_f32_e32 v104, 0xbf59a7d5, v82
	v_add_f32_e32 v97, v98, v97
	v_fmac_f32_e32 v96, 0x3f2c7751, v81
	v_add_f32_e32 v93, v93, v100
	v_add_f32_e32 v94, v94, v102
	v_fmamk_f32 v98, v73, 0x3f06c442, v104
	v_mul_f32_e32 v100, 0x3dbcf732, v85
	v_add_f32_e32 v96, v97, v96
	v_fmac_f32_e32 v101, 0xbf763a35, v90
	v_fmac_f32_e32 v99, 0xbf4c4adb, v78
	v_add_f32_e32 v94, v94, v98
	v_fmamk_f32 v97, v75, 0xbf7ee86f, v100
	v_mul_f32_e32 v98, 0x3f3d2fb0, v87
	v_add_f32_e32 v96, v96, v101
	v_add_f32_e32 v99, v74, v99
	v_fmac_f32_e32 v95, 0x3f763a35, v76
	v_add_f32_e32 v94, v94, v97
	v_fmamk_f32 v97, v79, 0x3f2c7751, v98
	v_mul_f32_e32 v101, 0xbe8c1d8e, v83
	v_fmac_f32_e32 v103, 0xbeb8f4ab, v77
	v_add_f32_e32 v95, v99, v95
	v_mul_f32_e32 v99, 0xbf59a7d5, v86
	v_add_f32_e32 v94, v94, v97
	v_fmamk_f32 v97, v78, 0x3f763a35, v101
	v_fmac_f32_e32 v104, 0xbf06c442, v73
	v_add_f32_e32 v95, v95, v103
	v_fmamk_f32 v103, v76, 0xbf06c442, v99
	v_mul_f32_e32 v106, 0x3f3d2fb0, v84
	v_add_f32_e32 v97, v74, v97
	v_mul_f32_e32 v102, 0xbf7ba420, v88
	v_add_f32_e32 v95, v95, v104
	v_fmac_f32_e32 v100, 0x3f7ee86f, v75
	v_mul_f32_e32 v104, 0x3ee437d1, v82
	v_add_f32_e32 v97, v97, v103
	v_fmamk_f32 v103, v77, 0xbf2c7751, v106
	v_fmamk_f32 v105, v81, 0x3e3c28d5, v102
	v_add_f32_e32 v95, v95, v100
	v_fmac_f32_e32 v98, 0xbf2c7751, v79
	v_fmamk_f32 v100, v73, 0x3f65296c, v104
	v_add_f32_e32 v97, v97, v103
	v_mul_f32_e32 v103, 0xbf7ba420, v85
	v_add_f32_e32 v94, v94, v105
	v_mul_f32_e32 v105, 0x3ee437d1, v89
	v_add_f32_e32 v95, v95, v98
	v_fmac_f32_e32 v102, 0xbe3c28d5, v81
	v_add_f32_e32 v97, v97, v100
	v_fmamk_f32 v98, v75, 0x3e3c28d5, v103
	v_mul_f32_e32 v100, 0x3dbcf732, v87
	v_fmamk_f32 v107, v90, 0xbf65296c, v105
	v_fmac_f32_e32 v101, 0xbf763a35, v78
	v_add_f32_e32 v95, v95, v102
	v_add_f32_e32 v97, v97, v98
	v_fmamk_f32 v98, v79, 0xbf7ee86f, v100
	v_mul_f32_e32 v102, 0x3f6eb680, v88
	v_add_f32_e32 v94, v94, v107
	v_add_f32_e32 v101, v74, v101
	v_fmac_f32_e32 v99, 0x3f06c442, v76
	v_add_f32_e32 v97, v97, v98
	v_fmamk_f32 v98, v81, 0x3eb8f4ab, v102
	v_mul_f32_e32 v107, 0x3dbcf732, v83
	v_fmac_f32_e32 v105, 0x3f65296c, v90
	v_add_f32_e32 v99, v101, v99
	v_fmac_f32_e32 v106, 0x3f2c7751, v77
	v_add_f32_e32 v97, v97, v98
	v_fmamk_f32 v98, v78, 0x3f7ee86f, v107
	v_mul_f32_e32 v101, 0xbf7ba420, v86
	v_add_f32_e32 v95, v95, v105
	v_add_f32_e32 v99, v99, v106
	v_fmac_f32_e32 v104, 0xbf65296c, v73
	v_mul_f32_e32 v105, 0xbf1a4643, v89
	v_add_f32_e32 v98, v74, v98
	v_fmamk_f32 v106, v76, 0x3e3c28d5, v101
	v_mul_f32_e32 v108, 0xbe8c1d8e, v84
	v_add_f32_e32 v99, v99, v104
	v_fmac_f32_e32 v103, 0xbe3c28d5, v75
	v_fmamk_f32 v104, v90, 0x3f4c4adb, v105
	v_add_f32_e32 v98, v98, v106
	v_fmamk_f32 v106, v77, 0xbf763a35, v108
	v_mul_f32_e32 v109, 0x3f6eb680, v82
	v_add_f32_e32 v99, v99, v103
	v_fmac_f32_e32 v100, 0x3f7ee86f, v79
	v_add_f32_e32 v97, v97, v104
	v_add_f32_e32 v98, v98, v106
	v_fmamk_f32 v103, v73, 0xbeb8f4ab, v109
	v_mul_f32_e32 v104, 0x3ee437d1, v85
	v_add_f32_e32 v99, v99, v100
	v_fmac_f32_e32 v102, 0xbeb8f4ab, v81
	v_fmac_f32_e32 v107, 0xbf7ee86f, v78
	v_add_f32_e32 v98, v98, v103
	v_fmamk_f32 v100, v75, 0x3f65296c, v104
	v_mul_f32_e32 v103, 0xbf59a7d5, v87
	v_add_f32_e32 v99, v99, v102
	v_add_f32_e32 v102, v74, v107
	v_fmac_f32_e32 v101, 0xbe3c28d5, v76
	v_add_f32_e32 v98, v98, v100
	v_fmamk_f32 v100, v79, 0x3f06c442, v103
	v_mul_f32_e32 v106, 0xbf1a4643, v88
	v_fmac_f32_e32 v105, 0xbf4c4adb, v90
	v_add_f32_e32 v101, v102, v101
	v_fmac_f32_e32 v108, 0x3f763a35, v77
	v_add_f32_e32 v98, v98, v100
	v_fmamk_f32 v100, v81, 0xbf4c4adb, v106
	v_mul_f32_e32 v102, 0x3ee437d1, v83
	v_add_f32_e32 v99, v99, v105
	v_add_f32_e32 v101, v101, v108
	v_fmac_f32_e32 v109, 0x3eb8f4ab, v73
	v_add_f32_e32 v98, v98, v100
	v_fmamk_f32 v100, v78, 0x3f65296c, v102
	v_mul_f32_e32 v105, 0xbf1a4643, v86
	v_fmac_f32_e32 v104, 0xbf65296c, v75
	v_add_f32_e32 v101, v101, v109
	v_mul_f32_e32 v109, 0xbf7ba420, v84
	v_add_f32_e32 v100, v74, v100
	v_fmamk_f32 v108, v76, 0x3f4c4adb, v105
	v_mul_f32_e32 v107, 0x3f3d2fb0, v89
	v_add_f32_e32 v101, v101, v104
	v_fmac_f32_e32 v103, 0xbf06c442, v79
	v_fmamk_f32 v104, v77, 0xbe3c28d5, v109
	v_add_f32_e32 v100, v100, v108
	v_mul_f32_e32 v108, 0xbe8c1d8e, v82
	v_fmamk_f32 v110, v90, 0xbf2c7751, v107
	v_fmac_f32_e32 v102, 0xbf65296c, v78
	v_add_f32_e32 v101, v101, v103
	v_add_f32_e32 v100, v100, v104
	v_fmamk_f32 v103, v73, 0xbf763a35, v108
	v_mul_f32_e32 v104, 0x3f3d2fb0, v85
	v_add_f32_e32 v98, v98, v110
	v_add_f32_e32 v102, v74, v102
	v_fmac_f32_e32 v105, 0xbf4c4adb, v76
	v_add_f32_e32 v100, v100, v103
	v_fmamk_f32 v103, v75, 0xbf2c7751, v104
	v_mul_f32_e32 v110, 0x3f6eb680, v87
	v_fmac_f32_e32 v106, 0x3f4c4adb, v81
	v_add_f32_e32 v102, v102, v105
	v_fmac_f32_e32 v109, 0x3e3c28d5, v77
	v_add_f32_e32 v100, v100, v103
	v_fmamk_f32 v103, v79, 0x3eb8f4ab, v110
	v_mul_f32_e32 v105, 0x3dbcf732, v88
	v_add_f32_e32 v101, v101, v106
	v_add_f32_e32 v102, v102, v109
	v_fmac_f32_e32 v108, 0x3f763a35, v73
	v_fmac_f32_e32 v107, 0x3f2c7751, v90
	v_add_f32_e32 v100, v100, v103
	v_fmamk_f32 v103, v81, 0x3f7ee86f, v105
	v_mul_f32_e32 v106, 0x3f3d2fb0, v83
	v_add_f32_e32 v102, v102, v108
	v_fmac_f32_e32 v104, 0x3f2c7751, v75
	v_add_f32_e32 v101, v101, v107
	v_add_f32_e32 v100, v100, v103
	v_fmamk_f32 v103, v78, 0x3f2c7751, v106
	v_mul_f32_e32 v107, 0x3dbcf732, v86
	v_add_f32_e32 v102, v102, v104
	v_fmac_f32_e32 v110, 0xbeb8f4ab, v79
	v_mul_f32_e32 v109, 0xbf1a4643, v84
	v_add_f32_e32 v103, v74, v103
	v_fmamk_f32 v108, v76, 0x3f7ee86f, v107
	v_mul_f32_e32 v104, 0xbf59a7d5, v89
	v_add_f32_e32 v102, v102, v110
	v_fmac_f32_e32 v105, 0xbf7ee86f, v81
	v_mul_f32_e32 v111, 0xbf7ba420, v82
	v_add_f32_e32 v103, v103, v108
	v_fmamk_f32 v108, v77, 0x3f4c4adb, v109
	v_fmamk_f32 v110, v90, 0x3f06c442, v104
	v_add_f32_e32 v102, v102, v105
	v_fmac_f32_e32 v104, 0xbf06c442, v90
	v_fmac_f32_e32 v106, 0xbf2c7751, v78
	v_add_f32_e32 v103, v103, v108
	v_fmamk_f32 v105, v73, 0x3e3c28d5, v111
	v_mul_f32_e32 v108, 0xbf59a7d5, v85
	v_add_f32_e32 v102, v102, v104
	v_add_f32_e32 v104, v74, v106
	;; [unrolled: 1-line block ×4, first 2 shown]
	v_fmamk_f32 v105, v75, 0xbf06c442, v108
	v_fmac_f32_e32 v107, 0xbf7ee86f, v76
	v_fmac_f32_e32 v109, 0xbf4c4adb, v77
	;; [unrolled: 1-line block ×3, first 2 shown]
	v_mul_f32_e32 v112, 0xbe8c1d8e, v87
	v_add_f32_e32 v103, v103, v105
	v_add_f32_e32 v105, v106, v35
	;; [unrolled: 1-line block ×3, first 2 shown]
	v_fmac_f32_e32 v108, 0x3f06c442, v75
	v_mul_f32_e32 v83, 0x3f6eb680, v83
	v_fmamk_f32 v106, v79, 0xbf763a35, v112
	v_add_f32_e32 v105, v105, v27
	v_add_f32_e32 v104, v104, v109
	v_fmac_f32_e32 v112, 0x3f763a35, v79
	v_mul_f32_e32 v86, 0x3f3d2fb0, v86
	v_mul_f32_e32 v84, 0x3ee437d1, v84
	v_add_f32_e32 v105, v105, v21
	v_add_f32_e32 v104, v104, v111
	v_mul_f32_e32 v82, 0x3dbcf732, v82
	v_mul_f32_e32 v85, 0xbe8c1d8e, v85
	;; [unrolled: 1-line block ×3, first 2 shown]
	v_add_f32_e32 v105, v105, v17
	v_add_f32_e32 v104, v104, v108
	v_fmamk_f32 v108, v78, 0x3eb8f4ab, v83
	v_fmac_f32_e32 v83, 0xbeb8f4ab, v78
	v_add_f32_e32 v103, v103, v106
	v_add_f32_e32 v105, v105, v13
	;; [unrolled: 1-line block ×3, first 2 shown]
	v_fmamk_f32 v104, v76, 0x3f2c7751, v86
	v_add_f32_e32 v83, v74, v83
	v_fmac_f32_e32 v86, 0xbf2c7751, v76
	v_add_f32_e32 v105, v105, v9
	v_fmamk_f32 v76, v77, 0x3f65296c, v84
	v_fmac_f32_e32 v84, 0xbf65296c, v77
	v_add_f32_e32 v74, v74, v108
	v_add_f32_e32 v83, v83, v86
	;; [unrolled: 1-line block ×3, first 2 shown]
	v_fmamk_f32 v86, v73, 0x3f7ee86f, v82
	v_fmac_f32_e32 v82, 0xbf7ee86f, v73
	v_add_f32_e32 v74, v74, v104
	v_add_f32_e32 v83, v83, v84
	;; [unrolled: 1-line block ×3, first 2 shown]
	v_fmamk_f32 v106, v81, 0xbf65296c, v107
	v_mul_f32_e32 v109, 0x3f6eb680, v89
	v_add_f32_e32 v74, v74, v76
	v_fmamk_f32 v76, v75, 0x3f763a35, v85
	v_add_f32_e32 v73, v11, v77
	v_mul_f32_e32 v77, 0xbf1a4643, v87
	v_add_f32_e32 v82, v83, v82
	v_fmac_f32_e32 v85, 0xbf763a35, v75
	v_add_f32_e32 v74, v74, v86
	v_add_f32_e32 v73, v15, v73
	v_fmamk_f32 v75, v79, 0x3f4c4adb, v77
	v_mul_f32_e32 v83, 0xbf59a7d5, v88
	v_add_f32_e32 v82, v82, v85
	v_fmac_f32_e32 v77, 0xbf4c4adb, v79
	v_add_f32_e32 v73, v19, v73
	v_add_f32_e32 v74, v74, v76
	v_fmamk_f32 v76, v81, 0x3f06c442, v83
	v_mul_f32_e32 v79, 0xbf7ba420, v89
	v_add_f32_e32 v77, v82, v77
	v_add_f32_e32 v73, v23, v73
	v_fmac_f32_e32 v83, 0xbf06c442, v81
	v_fmac_f32_e32 v107, 0x3f65296c, v81
	v_add_f32_e32 v74, v74, v75
	v_fmamk_f32 v75, v90, 0x3e3c28d5, v79
	v_add_f32_e32 v73, v29, v73
	v_add_f32_e32 v77, v77, v83
	v_fmac_f32_e32 v79, 0xbe3c28d5, v90
	v_add_f32_e32 v103, v103, v106
	v_fmamk_f32 v106, v90, 0xbeb8f4ab, v109
	v_add_f32_e32 v73, v31, v73
	v_add_f32_e32 v78, v78, v107
	v_fmac_f32_e32 v109, 0x3eb8f4ab, v90
	v_add_f32_e32 v74, v74, v76
	v_add_f32_e32 v76, v77, v79
	;; [unrolled: 1-line block ×3, first 2 shown]
	v_add3_u32 v77, 0, v25, v0
	v_add_f32_e32 v78, v78, v109
	v_add_f32_e32 v79, v100, v110
	;; [unrolled: 1-line block ×4, first 2 shown]
	ds_write2_b32 v77, v73, v76 offset1:1
	ds_write2_b32 v77, v78, v102 offset0:2 offset1:3
	ds_write2_b32 v77, v101, v99 offset0:4 offset1:5
	;; [unrolled: 1-line block ×7, first 2 shown]
	ds_write_b32 v77, v74 offset:64
.LBB0_16:
	s_or_b32 exec_lo, exec_lo, s1
	v_add_f32_e32 v73, v64, v72
	v_sub_f32_e32 v67, v69, v67
	v_sub_f32_e32 v65, v71, v65
	v_add_f32_e32 v71, v72, v66
	v_add_f32_e32 v72, v70, v68
	;; [unrolled: 1-line block ×3, first 2 shown]
	v_mul_f32_e32 v79, 0xbf2c7751, v67
	v_mul_f32_e32 v70, 0xbeb8f4ab, v65
	;; [unrolled: 1-line block ×4, first 2 shown]
	v_add_f32_e32 v69, v69, v60
	v_mul_f32_e32 v75, 0xbf7ee86f, v65
	v_mul_f32_e32 v76, 0xbf763a35, v65
	;; [unrolled: 1-line block ×4, first 2 shown]
	v_add_f32_e32 v69, v69, v56
	v_mul_f32_e32 v65, 0xbe3c28d5, v65
	v_fma_f32 v85, 0x3f6eb680, v71, -v70
	v_fmac_f32_e32 v70, 0x3f6eb680, v71
	v_fma_f32 v86, 0x3f3d2fb0, v71, -v73
	v_add_f32_e32 v69, v69, v52
	v_fmac_f32_e32 v73, 0x3f3d2fb0, v71
	v_fma_f32 v87, 0x3ee437d1, v71, -v74
	v_fmac_f32_e32 v74, 0x3ee437d1, v71
	v_fma_f32 v88, 0x3dbcf732, v71, -v75
	v_add_f32_e32 v69, v69, v48
	v_fmac_f32_e32 v75, 0x3dbcf732, v71
	v_fma_f32 v89, 0xbe8c1d8e, v71, -v76
	v_fmac_f32_e32 v76, 0xbe8c1d8e, v71
	v_fma_f32 v90, 0xbf1a4643, v71, -v77
	v_add_f32_e32 v69, v69, v44
	v_fmac_f32_e32 v77, 0xbf1a4643, v71
	v_fma_f32 v91, 0xbf59a7d5, v71, -v78
	v_fmac_f32_e32 v78, 0xbf59a7d5, v71
	v_fma_f32 v92, 0xbf7ba420, v71, -v65
	v_add_f32_e32 v69, v69, v40
	v_fmac_f32_e32 v65, 0xbf7ba420, v71
	v_mul_f32_e32 v82, 0xbf4c4adb, v67
	v_mul_f32_e32 v83, 0xbe3c28d5, v67
	v_fma_f32 v71, 0x3f3d2fb0, v72, -v79
	v_add_f32_e32 v69, v69, v42
	v_fmac_f32_e32 v79, 0x3f3d2fb0, v72
	v_add_f32_e32 v85, v85, v64
	v_add_f32_e32 v70, v70, v64
	;; [unrolled: 1-line block ×20, first 2 shown]
	v_fma_f32 v94, 0xbf1a4643, v72, -v82
	v_fmac_f32_e32 v82, 0xbf1a4643, v72
	v_mul_f32_e32 v81, 0xbf7ee86f, v67
	v_add_f32_e32 v69, v69, v62
	v_mul_f32_e32 v84, 0x3f06c442, v67
	v_sub_f32_e32 v59, v59, v61
	v_add_f32_e32 v74, v82, v74
	v_fma_f32 v93, 0x3dbcf732, v72, -v81
	v_add_f32_e32 v65, v69, v68
	v_add_f32_e32 v68, v79, v70
	v_mul_f32_e32 v79, 0x3f763a35, v67
	v_fmac_f32_e32 v81, 0x3dbcf732, v72
	v_add_f32_e32 v60, v60, v62
	v_add_f32_e32 v65, v65, v66
	v_fma_f32 v66, 0xbf7ba420, v72, -v83
	v_fmac_f32_e32 v83, 0xbf7ba420, v72
	v_fma_f32 v82, 0xbe8c1d8e, v72, -v79
	v_fmac_f32_e32 v79, 0xbe8c1d8e, v72
	v_mul_f32_e32 v62, 0xbf65296c, v59
	v_add_f32_e32 v71, v71, v85
	v_add_f32_e32 v75, v83, v75
	v_mul_f32_e32 v83, 0x3f65296c, v67
	v_mul_f32_e32 v67, 0x3eb8f4ab, v67
	v_add_f32_e32 v77, v79, v77
	v_add_f32_e32 v70, v81, v73
	v_fma_f32 v81, 0xbf59a7d5, v72, -v84
	v_fma_f32 v61, 0x3ee437d1, v72, -v83
	v_fmac_f32_e32 v83, 0x3ee437d1, v72
	v_fma_f32 v79, 0x3f6eb680, v72, -v67
	v_fmac_f32_e32 v67, 0x3f6eb680, v72
	v_fmac_f32_e32 v84, 0xbf59a7d5, v72
	v_add_f32_e32 v69, v93, v86
	v_add_f32_e32 v72, v83, v78
	;; [unrolled: 1-line block ×3, first 2 shown]
	v_fma_f32 v79, 0x3ee437d1, v60, -v62
	v_mul_f32_e32 v83, 0xbf4c4adb, v59
	v_add_f32_e32 v64, v67, v64
	v_fmac_f32_e32 v62, 0x3ee437d1, v60
	v_mul_f32_e32 v67, 0x3e3c28d5, v59
	v_add_f32_e32 v73, v94, v87
	v_add_f32_e32 v76, v84, v76
	;; [unrolled: 1-line block ×3, first 2 shown]
	v_fma_f32 v79, 0xbf1a4643, v60, -v83
	v_add_f32_e32 v62, v62, v68
	v_fma_f32 v68, 0xbf7ba420, v60, -v67
	v_mul_f32_e32 v84, 0x3f763a35, v59
	v_add_f32_e32 v66, v66, v88
	v_add_f32_e32 v69, v79, v69
	v_mul_f32_e32 v79, 0x3f2c7751, v59
	v_add_f32_e32 v68, v68, v73
	v_fma_f32 v73, 0xbe8c1d8e, v60, -v84
	v_fmac_f32_e32 v84, 0xbe8c1d8e, v60
	v_add_f32_e32 v81, v81, v89
	v_fmac_f32_e32 v67, 0xbf7ba420, v60
	v_add_f32_e32 v61, v61, v91
	v_add_f32_e32 v66, v73, v66
	v_fma_f32 v73, 0x3f3d2fb0, v60, -v79
	v_add_f32_e32 v75, v84, v75
	v_mul_f32_e32 v84, 0xbf7ee86f, v59
	v_fmac_f32_e32 v83, 0xbf1a4643, v60
	v_add_f32_e32 v67, v67, v74
	v_mul_f32_e32 v74, 0xbeb8f4ab, v59
	v_add_f32_e32 v73, v73, v81
	v_fma_f32 v81, 0x3dbcf732, v60, -v84
	v_mul_f32_e32 v59, 0xbf06c442, v59
	v_sub_f32_e32 v55, v55, v57
	v_add_f32_e32 v70, v83, v70
	v_fma_f32 v83, 0x3f6eb680, v60, -v74
	v_fmac_f32_e32 v74, 0x3f6eb680, v60
	v_add_f32_e32 v57, v81, v61
	v_fma_f32 v61, 0xbf59a7d5, v60, -v59
	v_add_f32_e32 v56, v58, v56
	v_mul_f32_e32 v58, 0xbf7ee86f, v55
	v_fmac_f32_e32 v59, 0xbf59a7d5, v60
	v_add_f32_e32 v74, v74, v77
	v_fmac_f32_e32 v79, 0x3f3d2fb0, v60
	v_fmac_f32_e32 v84, 0x3dbcf732, v60
	v_fma_f32 v77, 0x3dbcf732, v56, -v58
	v_fmac_f32_e32 v58, 0x3dbcf732, v56
	v_add_f32_e32 v59, v59, v64
	v_mul_f32_e32 v64, 0x3f763a35, v55
	v_add_f32_e32 v60, v61, v78
	v_mul_f32_e32 v61, 0xbe3c28d5, v55
	v_add_f32_e32 v58, v62, v58
	v_add_f32_e32 v71, v71, v77
	v_fma_f32 v62, 0xbe8c1d8e, v56, -v64
	v_mul_f32_e32 v77, 0x3eb8f4ab, v55
	v_fma_f32 v78, 0xbf7ba420, v56, -v61
	v_fmac_f32_e32 v61, 0xbf7ba420, v56
	v_fmac_f32_e32 v64, 0xbe8c1d8e, v56
	v_add_f32_e32 v62, v68, v62
	v_mul_f32_e32 v68, 0xbf65296c, v55
	v_add_f32_e32 v76, v79, v76
	v_add_f32_e32 v69, v69, v78
	;; [unrolled: 1-line block ×3, first 2 shown]
	v_fma_f32 v70, 0x3f6eb680, v56, -v77
	v_add_f32_e32 v64, v67, v64
	v_fmac_f32_e32 v77, 0x3f6eb680, v56
	v_mul_f32_e32 v67, 0xbf06c442, v55
	v_fma_f32 v78, 0x3ee437d1, v56, -v68
	v_fmac_f32_e32 v68, 0x3ee437d1, v56
	v_add_f32_e32 v66, v66, v70
	v_add_f32_e32 v70, v75, v77
	v_fma_f32 v75, 0xbf59a7d5, v56, -v67
	v_fmac_f32_e32 v67, 0xbf59a7d5, v56
	v_add_f32_e32 v68, v76, v68
	v_mul_f32_e32 v76, 0x3f4c4adb, v55
	v_mul_f32_e32 v55, 0x3f2c7751, v55
	v_sub_f32_e32 v51, v51, v53
	v_add_f32_e32 v72, v84, v72
	v_add_f32_e32 v67, v74, v67
	v_fma_f32 v53, 0xbf1a4643, v56, -v76
	v_fmac_f32_e32 v76, 0xbf1a4643, v56
	v_fma_f32 v74, 0x3f3d2fb0, v56, -v55
	v_add_f32_e32 v52, v54, v52
	v_mul_f32_e32 v54, 0xbf763a35, v51
	v_fmac_f32_e32 v55, 0x3f3d2fb0, v56
	v_add_f32_e32 v53, v57, v53
	v_add_f32_e32 v56, v72, v76
	;; [unrolled: 1-line block ×3, first 2 shown]
	v_fma_f32 v60, 0xbe8c1d8e, v52, -v54
	v_mul_f32_e32 v72, 0x3f06c442, v51
	v_add_f32_e32 v55, v59, v55
	v_fmac_f32_e32 v54, 0xbe8c1d8e, v52
	v_mul_f32_e32 v59, 0x3f2c7751, v51
	v_add_f32_e32 v82, v82, v90
	v_add_f32_e32 v60, v71, v60
	v_fma_f32 v71, 0xbf59a7d5, v52, -v72
	v_add_f32_e32 v54, v58, v54
	v_fma_f32 v58, 0x3f3d2fb0, v52, -v59
	v_mul_f32_e32 v74, 0xbf65296c, v51
	v_fmac_f32_e32 v59, 0x3f3d2fb0, v52
	v_add_f32_e32 v79, v83, v82
	v_fmac_f32_e32 v72, 0xbf59a7d5, v52
	v_add_f32_e32 v69, v69, v71
	v_add_f32_e32 v58, v62, v58
	v_fma_f32 v62, 0x3ee437d1, v52, -v74
	v_mul_f32_e32 v71, 0xbe3c28d5, v51
	v_fmac_f32_e32 v74, 0x3ee437d1, v52
	v_add_f32_e32 v59, v64, v59
	v_mul_f32_e32 v64, 0x3f7ee86f, v51
	v_add_f32_e32 v75, v79, v75
	v_add_f32_e32 v61, v61, v72
	;; [unrolled: 1-line block ×3, first 2 shown]
	v_fma_f32 v66, 0xbf7ba420, v52, -v71
	v_add_f32_e32 v70, v70, v74
	v_fmac_f32_e32 v71, 0xbf7ba420, v52
	v_fma_f32 v72, 0x3dbcf732, v52, -v64
	v_mul_f32_e32 v74, 0xbeb8f4ab, v51
	v_mul_f32_e32 v51, 0xbf4c4adb, v51
	v_sub_f32_e32 v47, v47, v49
	v_add_f32_e32 v68, v68, v71
	v_add_f32_e32 v71, v75, v72
	v_fma_f32 v72, 0x3f6eb680, v52, -v74
	v_add_f32_e32 v48, v48, v50
	v_mul_f32_e32 v50, 0xbf4c4adb, v47
	v_fmac_f32_e32 v64, 0x3dbcf732, v52
	v_fmac_f32_e32 v74, 0x3f6eb680, v52
	v_add_f32_e32 v49, v53, v72
	v_fma_f32 v53, 0xbf1a4643, v52, -v51
	v_fmac_f32_e32 v51, 0xbf1a4643, v52
	v_add_f32_e32 v64, v67, v64
	v_sub_f32_e32 v43, v43, v45
	v_add_f32_e32 v44, v46, v44
	v_add_f32_e32 v52, v57, v53
	v_mul_f32_e32 v53, 0x3f763a35, v47
	v_fma_f32 v57, 0xbf1a4643, v48, -v50
	v_fmac_f32_e32 v50, 0xbf1a4643, v48
	v_add_f32_e32 v51, v55, v51
	v_mul_f32_e32 v55, 0xbeb8f4ab, v47
	v_fma_f32 v67, 0xbe8c1d8e, v48, -v53
	v_add_f32_e32 v57, v57, v60
	v_add_f32_e32 v50, v50, v54
	v_fmac_f32_e32 v53, 0xbe8c1d8e, v48
	v_fma_f32 v54, 0x3f6eb680, v48, -v55
	v_add_f32_e32 v60, v67, v69
	v_mul_f32_e32 v67, 0xbf06c442, v47
	v_fmac_f32_e32 v55, 0x3f6eb680, v48
	v_add_f32_e32 v53, v53, v61
	v_add_f32_e32 v54, v54, v58
	v_mul_f32_e32 v58, 0x3f7ee86f, v47
	v_fma_f32 v61, 0xbf59a7d5, v48, -v67
	v_add_f32_e32 v55, v55, v59
	v_fmac_f32_e32 v67, 0xbf59a7d5, v48
	v_mul_f32_e32 v59, 0xbf2c7751, v47
	v_fma_f32 v69, 0x3dbcf732, v48, -v58
	v_fmac_f32_e32 v58, 0x3dbcf732, v48
	v_add_f32_e32 v61, v61, v62
	v_add_f32_e32 v62, v67, v70
	v_fma_f32 v67, 0x3f3d2fb0, v48, -v59
	v_fmac_f32_e32 v59, 0x3f3d2fb0, v48
	v_add_f32_e32 v58, v58, v68
	v_mul_f32_e32 v68, 0xbe3c28d5, v47
	v_mul_f32_e32 v47, 0x3f65296c, v47
	;; [unrolled: 1-line block ×3, first 2 shown]
	v_add_f32_e32 v59, v59, v64
	v_add_f32_e32 v56, v56, v74
	v_fma_f32 v45, 0xbf7ba420, v48, -v68
	v_fma_f32 v64, 0x3ee437d1, v48, -v47
	v_fmac_f32_e32 v47, 0x3ee437d1, v48
	v_fmac_f32_e32 v68, 0xbf7ba420, v48
	v_sub_f32_e32 v39, v39, v41
	v_add_f32_e32 v45, v45, v49
	v_add_f32_e32 v49, v64, v52
	v_fma_f32 v52, 0xbf59a7d5, v44, -v46
	v_add_f32_e32 v47, v47, v51
	v_fmac_f32_e32 v46, 0xbf59a7d5, v44
	v_mul_f32_e32 v51, 0xbf7ee86f, v43
	v_add_f32_e32 v48, v68, v56
	v_mul_f32_e32 v56, 0x3f65296c, v43
	v_mul_f32_e32 v64, 0x3f4c4adb, v43
	v_add_f32_e32 v46, v50, v46
	v_fma_f32 v50, 0x3dbcf732, v44, -v51
	v_add_f32_e32 v52, v57, v52
	v_fma_f32 v57, 0x3ee437d1, v44, -v56
	v_fmac_f32_e32 v56, 0x3ee437d1, v44
	v_fmac_f32_e32 v51, 0x3dbcf732, v44
	v_add_f32_e32 v50, v54, v50
	v_fma_f32 v54, 0xbf1a4643, v44, -v64
	v_fmac_f32_e32 v64, 0xbf1a4643, v44
	v_add_f32_e32 v53, v53, v56
	v_mul_f32_e32 v56, 0xbeb8f4ab, v43
	v_add_f32_e32 v51, v55, v51
	v_mul_f32_e32 v55, 0xbe3c28d5, v43
	v_add_f32_e32 v54, v61, v54
	v_add_f32_e32 v61, v62, v64
	v_mul_f32_e32 v64, 0x3f2c7751, v43
	v_mul_f32_e32 v43, 0xbf763a35, v43
	v_add_f32_e32 v68, v40, v42
	v_mul_f32_e32 v40, 0xbe3c28d5, v39
	v_add_f32_e32 v73, v73, v78
	v_add_f32_e32 v67, v67, v71
	v_fma_f32 v41, 0xbe8c1d8e, v44, -v43
	v_fmac_f32_e32 v43, 0xbe8c1d8e, v44
	v_fma_f32 v42, 0xbf7ba420, v68, -v40
	v_fmac_f32_e32 v40, 0xbf7ba420, v68
	v_add_f32_e32 v66, v73, v66
	v_add_f32_e32 v57, v60, v57
	;; [unrolled: 1-line block ×3, first 2 shown]
	v_mul_f32_e32 v43, 0xbf06c442, v39
	v_add_f32_e32 v73, v40, v46
	v_fma_f32 v60, 0x3f6eb680, v44, -v56
	v_fmac_f32_e32 v56, 0x3f6eb680, v44
	v_fma_f32 v62, 0xbf7ba420, v44, -v55
	v_fma_f32 v40, 0xbf59a7d5, v68, -v43
	v_fmac_f32_e32 v43, 0xbf59a7d5, v68
	v_add_f32_e32 v70, v49, v41
	v_mul_f32_e32 v41, 0x3eb8f4ab, v39
	v_add_f32_e32 v66, v69, v66
	v_add_f32_e32 v76, v40, v50
	v_mul_f32_e32 v40, 0xbf4c4adb, v39
	v_add_f32_e32 v56, v58, v56
	v_add_f32_e32 v77, v43, v51
	v_fmac_f32_e32 v55, 0xbf7ba420, v44
	v_add_f32_e32 v58, v67, v62
	v_fma_f32 v43, 0xbf1a4643, v68, -v40
	v_fmac_f32_e32 v40, 0xbf1a4643, v68
	v_fma_f32 v62, 0x3f3d2fb0, v44, -v64
	v_fmac_f32_e32 v64, 0x3f3d2fb0, v44
	v_fma_f32 v44, 0x3f6eb680, v68, -v41
	v_add_f32_e32 v72, v42, v52
	v_fmac_f32_e32 v41, 0x3f6eb680, v68
	v_mul_f32_e32 v42, 0x3f2c7751, v39
	v_add_f32_e32 v60, v66, v60
	v_add_f32_e32 v84, v40, v56
	v_lshlrev_b32_e32 v40, 2, v80
	v_add_f32_e32 v75, v41, v53
	v_fma_f32 v41, 0x3f3d2fb0, v68, -v42
	v_mul_f32_e32 v78, 0x3f65296c, v39
	v_fmac_f32_e32 v42, 0x3f3d2fb0, v68
	v_add_f32_e32 v82, v43, v60
	v_add3_u32 v60, 0, v40, v0
	v_add_f32_e32 v66, v59, v55
	v_add_f32_e32 v79, v41, v54
	v_fma_f32 v41, 0x3ee437d1, v68, -v78
	v_add3_u32 v59, 0, v0, v40
	v_add_f32_e32 v81, v42, v61
	v_add_nc_u32_e32 v61, 0x200, v60
	v_add_f32_e32 v67, v45, v62
	v_add_nc_u32_e32 v62, 0x400, v60
	v_add_f32_e32 v69, v48, v64
	v_add_f32_e32 v74, v44, v57
	v_mul_f32_e32 v83, 0xbf763a35, v39
	v_add_f32_e32 v85, v41, v58
	v_mul_f32_e32 v87, 0x3f7ee86f, v39
	s_waitcnt lgkmcnt(0)
	s_barrier
	buffer_gl0_inv
	ds_read_b32 v64, v59
	ds_read2_b32 v[57:58], v60 offset0:119 offset1:136
	ds_read2_b32 v[45:46], v60 offset0:221 offset1:238
	;; [unrolled: 1-line block ×10, first 2 shown]
	v_fma_f32 v86, 0xbe8c1d8e, v68, -v83
	v_fmac_f32_e32 v83, 0xbe8c1d8e, v68
	v_fma_f32 v88, 0x3dbcf732, v68, -v87
	v_fmac_f32_e32 v87, 0x3dbcf732, v68
	v_fmac_f32_e32 v78, 0x3ee437d1, v68
	v_add_f32_e32 v67, v86, v67
	v_add_f32_e32 v68, v83, v69
	;; [unrolled: 1-line block ×5, first 2 shown]
	s_waitcnt lgkmcnt(0)
	s_barrier
	buffer_gl0_inv
	ds_write2_b32 v63, v65, v72 offset1:1
	ds_write2_b32 v63, v74, v76 offset0:2 offset1:3
	ds_write2_b32 v63, v79, v82 offset0:4 offset1:5
	;; [unrolled: 1-line block ×7, first 2 shown]
	ds_write_b32 v63, v73 offset:64
	s_and_saveexec_b32 s1, s0
	s_cbranch_execz .LBB0_18
; %bb.17:
	v_add_f32_e32 v63, v26, v38
	v_sub_f32_e32 v31, v35, v31
	v_sub_f32_e32 v33, v37, v33
	v_add_f32_e32 v37, v38, v34
	v_add_f32_e32 v38, v36, v32
	;; [unrolled: 1-line block ×3, first 2 shown]
	v_mul_f32_e32 v70, 0xbf2c7751, v31
	v_mul_f32_e32 v36, 0xbeb8f4ab, v33
	;; [unrolled: 1-line block ×4, first 2 shown]
	v_add_f32_e32 v35, v35, v28
	v_mul_f32_e32 v66, 0xbf7ee86f, v33
	v_mul_f32_e32 v67, 0xbf763a35, v33
	;; [unrolled: 1-line block ×4, first 2 shown]
	v_add_f32_e32 v35, v35, v22
	v_mul_f32_e32 v33, 0xbe3c28d5, v33
	v_fma_f32 v74, 0x3f6eb680, v37, -v36
	v_fmac_f32_e32 v36, 0x3f6eb680, v37
	v_fma_f32 v75, 0x3f3d2fb0, v37, -v63
	v_add_f32_e32 v35, v35, v18
	v_fmac_f32_e32 v63, 0x3f3d2fb0, v37
	v_fma_f32 v76, 0x3ee437d1, v37, -v65
	v_fmac_f32_e32 v65, 0x3ee437d1, v37
	v_fma_f32 v77, 0x3dbcf732, v37, -v66
	v_add_f32_e32 v35, v35, v14
	v_fmac_f32_e32 v66, 0x3dbcf732, v37
	;; [unrolled: 5-line block ×4, first 2 shown]
	v_mul_f32_e32 v72, 0xbf4c4adb, v31
	v_mul_f32_e32 v73, 0xbe3c28d5, v31
	v_fma_f32 v37, 0x3f3d2fb0, v38, -v70
	v_add_f32_e32 v35, v35, v8
	v_fmac_f32_e32 v70, 0x3f3d2fb0, v38
	v_add_f32_e32 v74, v26, v74
	v_add_f32_e32 v36, v26, v36
	;; [unrolled: 1-line block ×20, first 2 shown]
	v_fma_f32 v84, 0xbf1a4643, v38, -v72
	v_fmac_f32_e32 v72, 0xbf1a4643, v38
	v_fma_f32 v85, 0xbf7ba420, v38, -v73
	v_add_f32_e32 v35, v30, v35
	v_fmac_f32_e32 v73, 0xbf7ba420, v38
	v_mul_f32_e32 v71, 0xbf7ee86f, v31
	v_add_f32_e32 v37, v74, v37
	v_add_f32_e32 v65, v65, v72
	;; [unrolled: 1-line block ×4, first 2 shown]
	v_mul_f32_e32 v70, 0x3f763a35, v31
	v_add_f32_e32 v66, v66, v73
	v_mul_f32_e32 v74, 0x3f65296c, v31
	v_add_f32_e32 v26, v34, v26
	v_mul_f32_e32 v34, 0x3f06c442, v31
	v_fma_f32 v73, 0xbe8c1d8e, v38, -v70
	v_fmac_f32_e32 v70, 0xbe8c1d8e, v38
	v_mul_f32_e32 v31, 0x3eb8f4ab, v31
	v_sub_f32_e32 v27, v27, v29
	v_fma_f32 v72, 0xbf59a7d5, v38, -v34
	v_fmac_f32_e32 v34, 0xbf59a7d5, v38
	v_add_f32_e32 v68, v68, v70
	v_fma_f32 v70, 0x3f6eb680, v38, -v31
	v_add_f32_e32 v28, v28, v30
	v_mul_f32_e32 v30, 0xbf65296c, v27
	v_add_f32_e32 v34, v67, v34
	v_add_f32_e32 v67, v79, v73
	v_fma_f32 v73, 0x3ee437d1, v38, -v74
	v_fmac_f32_e32 v31, 0x3f6eb680, v38
	v_fma_f32 v83, 0x3dbcf732, v38, -v71
	v_fmac_f32_e32 v71, 0x3dbcf732, v38
	v_fmac_f32_e32 v74, 0x3ee437d1, v38
	v_add_f32_e32 v29, v81, v73
	v_fma_f32 v73, 0x3ee437d1, v28, -v30
	v_fmac_f32_e32 v30, 0x3ee437d1, v28
	v_add_f32_e32 v31, v33, v31
	v_mul_f32_e32 v33, 0x3e3c28d5, v27
	v_add_f32_e32 v36, v63, v71
	v_add_f32_e32 v63, v76, v84
	;; [unrolled: 1-line block ×3, first 2 shown]
	v_mul_f32_e32 v70, 0xbf4c4adb, v27
	v_add_f32_e32 v30, v32, v30
	v_fma_f32 v32, 0xbf7ba420, v28, -v33
	v_add_f32_e32 v35, v75, v83
	v_add_f32_e32 v69, v69, v74
	v_fma_f32 v74, 0xbf1a4643, v28, -v70
	v_add_f32_e32 v37, v37, v73
	v_fmac_f32_e32 v70, 0xbf1a4643, v28
	v_mul_f32_e32 v73, 0x3f763a35, v27
	v_fmac_f32_e32 v33, 0xbf7ba420, v28
	v_add_f32_e32 v32, v63, v32
	v_mul_f32_e32 v63, 0x3f2c7751, v27
	v_add_f32_e32 v71, v77, v85
	v_add_f32_e32 v35, v35, v74
	;; [unrolled: 1-line block ×3, first 2 shown]
	v_fma_f32 v70, 0xbe8c1d8e, v28, -v73
	v_add_f32_e32 v33, v65, v33
	v_mul_f32_e32 v65, 0xbeb8f4ab, v27
	v_fma_f32 v74, 0x3f3d2fb0, v28, -v63
	v_fmac_f32_e32 v63, 0x3f3d2fb0, v28
	v_add_f32_e32 v70, v71, v70
	v_sub_f32_e32 v21, v21, v23
	v_fma_f32 v71, 0x3f6eb680, v28, -v65
	v_fmac_f32_e32 v65, 0x3f6eb680, v28
	v_add_f32_e32 v34, v34, v63
	v_mul_f32_e32 v63, 0xbf7ee86f, v27
	v_mul_f32_e32 v27, 0xbf06c442, v27
	v_add_f32_e32 v22, v22, v24
	v_add_f32_e32 v65, v68, v65
	v_mul_f32_e32 v24, 0xbf7ee86f, v21
	v_fma_f32 v23, 0x3dbcf732, v28, -v63
	v_fmac_f32_e32 v63, 0x3dbcf732, v28
	v_fma_f32 v68, 0xbf59a7d5, v28, -v27
	v_fmac_f32_e32 v27, 0xbf59a7d5, v28
	v_fmac_f32_e32 v73, 0xbe8c1d8e, v28
	v_add_f32_e32 v23, v29, v23
	v_add_f32_e32 v28, v69, v63
	;; [unrolled: 1-line block ×3, first 2 shown]
	v_fma_f32 v38, 0x3dbcf732, v22, -v24
	v_mul_f32_e32 v63, 0xbe3c28d5, v21
	v_add_f32_e32 v27, v31, v27
	v_fmac_f32_e32 v24, 0x3dbcf732, v22
	v_mul_f32_e32 v31, 0x3f763a35, v21
	v_add_f32_e32 v37, v37, v38
	v_fma_f32 v38, 0xbf7ba420, v22, -v63
	v_mul_f32_e32 v68, 0x3eb8f4ab, v21
	v_add_f32_e32 v24, v30, v24
	v_fma_f32 v30, 0xbe8c1d8e, v22, -v31
	v_fmac_f32_e32 v31, 0xbe8c1d8e, v22
	v_add_f32_e32 v66, v66, v73
	v_fmac_f32_e32 v63, 0xbf7ba420, v22
	v_add_f32_e32 v35, v35, v38
	v_add_f32_e32 v30, v32, v30
	v_fma_f32 v32, 0x3f6eb680, v22, -v68
	v_mul_f32_e32 v38, 0xbf65296c, v21
	v_fmac_f32_e32 v68, 0x3f6eb680, v22
	v_add_f32_e32 v31, v33, v31
	v_mul_f32_e32 v33, 0xbf06c442, v21
	v_add_f32_e32 v67, v67, v71
	v_add_f32_e32 v36, v36, v63
	v_fma_f32 v63, 0x3ee437d1, v22, -v38
	v_add_f32_e32 v66, v66, v68
	v_fmac_f32_e32 v38, 0x3ee437d1, v22
	v_fma_f32 v68, 0xbf59a7d5, v22, -v33
	v_mul_f32_e32 v69, 0x3f4c4adb, v21
	v_mul_f32_e32 v21, 0x3f2c7751, v21
	v_sub_f32_e32 v17, v17, v19
	v_add_f32_e32 v34, v34, v38
	v_add_f32_e32 v38, v67, v68
	v_fma_f32 v67, 0xbf1a4643, v22, -v69
	v_add_f32_e32 v18, v18, v20
	v_mul_f32_e32 v20, 0xbf763a35, v17
	v_fmac_f32_e32 v33, 0xbf59a7d5, v22
	v_fmac_f32_e32 v69, 0xbf1a4643, v22
	v_add_f32_e32 v19, v23, v67
	v_fma_f32 v23, 0x3f3d2fb0, v22, -v21
	v_fmac_f32_e32 v21, 0x3f3d2fb0, v22
	v_add_f32_e32 v33, v65, v33
	v_add_f32_e32 v32, v70, v32
	v_sub_f32_e32 v13, v13, v15
	v_add_f32_e32 v22, v29, v23
	v_fma_f32 v29, 0xbe8c1d8e, v18, -v20
	v_fmac_f32_e32 v20, 0xbe8c1d8e, v18
	v_add_f32_e32 v21, v27, v21
	v_mul_f32_e32 v27, 0x3f2c7751, v17
	v_mul_f32_e32 v23, 0x3f06c442, v17
	v_add_f32_e32 v29, v37, v29
	v_add_f32_e32 v20, v24, v20
	v_mul_f32_e32 v37, 0xbf65296c, v17
	v_fma_f32 v24, 0x3f3d2fb0, v18, -v27
	v_fma_f32 v65, 0xbf59a7d5, v18, -v23
	v_fmac_f32_e32 v23, 0xbf59a7d5, v18
	v_fmac_f32_e32 v27, 0x3f3d2fb0, v18
	v_add_f32_e32 v28, v28, v69
	v_add_f32_e32 v24, v30, v24
	v_mul_f32_e32 v30, 0xbe3c28d5, v17
	v_add_f32_e32 v35, v35, v65
	v_add_f32_e32 v23, v36, v23
	v_fma_f32 v36, 0x3ee437d1, v18, -v37
	v_add_f32_e32 v27, v31, v27
	v_fmac_f32_e32 v37, 0x3ee437d1, v18
	v_mul_f32_e32 v31, 0x3f7ee86f, v17
	v_fma_f32 v65, 0xbf7ba420, v18, -v30
	v_fmac_f32_e32 v30, 0xbf7ba420, v18
	v_add_f32_e32 v32, v32, v36
	v_add_f32_e32 v36, v66, v37
	v_fma_f32 v37, 0x3dbcf732, v18, -v31
	v_fmac_f32_e32 v31, 0x3dbcf732, v18
	v_add_f32_e32 v30, v34, v30
	v_mul_f32_e32 v34, 0xbeb8f4ab, v17
	v_mul_f32_e32 v17, 0xbf4c4adb, v17
	v_add_f32_e32 v14, v14, v16
	v_add_f32_e32 v31, v33, v31
	v_mul_f32_e32 v16, 0xbf4c4adb, v13
	v_fma_f32 v15, 0x3f6eb680, v18, -v34
	v_fmac_f32_e32 v34, 0x3f6eb680, v18
	v_fma_f32 v33, 0xbf1a4643, v18, -v17
	v_fmac_f32_e32 v17, 0xbf1a4643, v18
	v_sub_f32_e32 v9, v9, v11
	v_add_f32_e32 v15, v19, v15
	v_add_f32_e32 v19, v28, v34
	;; [unrolled: 1-line block ×3, first 2 shown]
	v_fma_f32 v22, 0xbf1a4643, v14, -v16
	v_mul_f32_e32 v28, 0x3f763a35, v13
	v_fmac_f32_e32 v16, 0xbf1a4643, v14
	v_add_f32_e32 v17, v21, v17
	v_mul_f32_e32 v21, 0xbeb8f4ab, v13
	v_add_f32_e32 v22, v29, v22
	v_fma_f32 v29, 0xbe8c1d8e, v14, -v28
	v_add_f32_e32 v16, v20, v16
	v_fmac_f32_e32 v28, 0xbe8c1d8e, v14
	v_fma_f32 v20, 0x3f6eb680, v14, -v21
	v_mul_f32_e32 v33, 0xbf06c442, v13
	v_fmac_f32_e32 v21, 0x3f6eb680, v14
	v_mul_f32_e32 v11, 0x3f65296c, v13
	v_add_f32_e32 v23, v23, v28
	v_add_f32_e32 v20, v24, v20
	v_fma_f32 v24, 0xbf59a7d5, v14, -v33
	v_mul_f32_e32 v28, 0x3f7ee86f, v13
	v_add_f32_e32 v21, v27, v21
	v_mul_f32_e32 v27, 0xbf2c7751, v13
	v_add_f32_e32 v10, v10, v12
	v_add_f32_e32 v24, v32, v24
	v_fma_f32 v32, 0x3dbcf732, v14, -v28
	v_fmac_f32_e32 v28, 0x3dbcf732, v14
	v_fma_f32 v34, 0x3f3d2fb0, v14, -v27
	v_fmac_f32_e32 v27, 0x3f3d2fb0, v14
	v_mul_f32_e32 v12, 0xbf06c442, v9
	v_fmac_f32_e32 v33, 0xbf59a7d5, v14
	v_add_f32_e32 v28, v30, v28
	v_mul_f32_e32 v30, 0xbe3c28d5, v13
	v_add_f32_e32 v27, v31, v27
	v_fma_f32 v31, 0x3ee437d1, v14, -v11
	v_fmac_f32_e32 v11, 0x3ee437d1, v14
	v_add_f32_e32 v29, v35, v29
	v_fma_f32 v13, 0xbf7ba420, v14, -v30
	v_fmac_f32_e32 v30, 0xbf7ba420, v14
	v_add_f32_e32 v72, v78, v72
	v_add_f32_e32 v11, v17, v11
	v_mul_f32_e32 v17, 0xbf7ee86f, v9
	v_add_f32_e32 v13, v15, v13
	v_add_f32_e32 v14, v19, v30
	v_fma_f32 v15, 0xbf59a7d5, v10, -v12
	v_mul_f32_e32 v19, 0x3f65296c, v9
	v_fmac_f32_e32 v12, 0xbf59a7d5, v10
	v_fma_f32 v30, 0x3dbcf732, v10, -v17
	v_fmac_f32_e32 v17, 0x3dbcf732, v10
	v_add_f32_e32 v15, v22, v15
	v_fma_f32 v22, 0x3ee437d1, v10, -v19
	v_fmac_f32_e32 v19, 0x3ee437d1, v10
	v_add_f32_e32 v12, v16, v12
	v_mul_f32_e32 v16, 0x3f4c4adb, v9
	v_add_f32_e32 v20, v20, v30
	v_add_f32_e32 v22, v29, v22
	;; [unrolled: 1-line block ×3, first 2 shown]
	v_mul_f32_e32 v29, 0xbeb8f4ab, v9
	v_fma_f32 v23, 0xbf1a4643, v10, -v16
	v_add_f32_e32 v17, v21, v17
	v_mul_f32_e32 v30, 0x3f2c7751, v9
	v_add_f32_e32 v72, v72, v74
	v_sub_f32_e32 v5, v5, v7
	v_add_f32_e32 v21, v24, v23
	v_fma_f32 v24, 0x3f6eb680, v10, -v29
	v_fmac_f32_e32 v29, 0x3f6eb680, v10
	v_mul_f32_e32 v23, 0xbe3c28d5, v9
	v_mul_f32_e32 v9, 0xbf763a35, v9
	v_add_f32_e32 v63, v72, v63
	v_add_f32_e32 v18, v18, v31
	;; [unrolled: 1-line block ×3, first 2 shown]
	v_fma_f32 v29, 0x3f3d2fb0, v10, -v30
	v_fmac_f32_e32 v30, 0x3f3d2fb0, v10
	v_fmac_f32_e32 v16, 0xbf1a4643, v10
	v_fma_f32 v31, 0xbf7ba420, v10, -v23
	v_fmac_f32_e32 v23, 0xbf7ba420, v10
	v_add_f32_e32 v7, v13, v29
	v_fma_f32 v13, 0xbe8c1d8e, v10, -v9
	v_add_f32_e32 v6, v6, v8
	v_mul_f32_e32 v8, 0xbe3c28d5, v5
	v_fmac_f32_e32 v9, 0xbe8c1d8e, v10
	v_add_f32_e32 v10, v14, v30
	v_mul_f32_e32 v14, 0x3eb8f4ab, v5
	v_add_f32_e32 v63, v63, v65
	v_add_f32_e32 v23, v27, v23
	;; [unrolled: 1-line block ×3, first 2 shown]
	v_fma_f32 v18, 0xbf7ba420, v6, -v8
	v_add_f32_e32 v9, v11, v9
	v_fmac_f32_e32 v8, 0xbf7ba420, v6
	v_fma_f32 v11, 0x3f6eb680, v6, -v14
	v_mul_f32_e32 v27, 0xbf06c442, v5
	v_fmac_f32_e32 v14, 0x3f6eb680, v6
	v_add_f32_e32 v33, v36, v33
	v_add_f32_e32 v32, v63, v32
	v_add_f32_e32 v15, v15, v18
	v_add_f32_e32 v8, v12, v8
	v_fma_f32 v12, 0xbf59a7d5, v6, -v27
	v_mul_f32_e32 v18, 0x3f2c7751, v5
	v_add_f32_e32 v14, v19, v14
	v_mul_f32_e32 v19, 0xbf4c4adb, v5
	v_fmac_f32_e32 v27, 0xbf59a7d5, v6
	v_add_f32_e32 v37, v38, v37
	v_add_f32_e32 v16, v33, v16
	v_add_f32_e32 v24, v32, v24
	v_add_f32_e32 v11, v22, v11
	v_add_f32_e32 v12, v20, v12
	v_fma_f32 v20, 0x3f3d2fb0, v6, -v18
	v_fmac_f32_e32 v18, 0x3f3d2fb0, v6
	v_fma_f32 v22, 0xbf1a4643, v6, -v19
	v_add_f32_e32 v17, v17, v27
	v_mul_f32_e32 v27, 0x3f65296c, v5
	v_add_f32_e32 v34, v37, v34
	v_add_f32_e32 v16, v16, v18
	;; [unrolled: 1-line block ×3, first 2 shown]
	v_mul_f32_e32 v22, 0xbf763a35, v5
	v_add_f32_e32 v20, v21, v20
	v_fma_f32 v21, 0x3ee437d1, v6, -v27
	v_fmac_f32_e32 v27, 0x3ee437d1, v6
	v_mul_f32_e32 v5, 0x3f7ee86f, v5
	v_add_f32_e32 v31, v34, v31
	v_fma_f32 v24, 0xbe8c1d8e, v6, -v22
	v_fmac_f32_e32 v19, 0xbf1a4643, v6
	v_add_f32_e32 v23, v23, v27
	v_fma_f32 v27, 0x3dbcf732, v6, -v5
	v_fmac_f32_e32 v5, 0x3dbcf732, v6
	v_fmac_f32_e32 v22, 0xbe8c1d8e, v6
	v_add3_u32 v6, 0, v25, v0
	v_add_f32_e32 v21, v31, v21
	v_add_f32_e32 v7, v7, v24
	;; [unrolled: 1-line block ×6, first 2 shown]
	ds_write2_b32 v6, v26, v15 offset1:1
	ds_write2_b32 v6, v11, v12 offset0:2 offset1:3
	ds_write2_b32 v6, v20, v18 offset0:4 offset1:5
	;; [unrolled: 1-line block ×7, first 2 shown]
	ds_write_b32 v6, v8 offset:64
.LBB0_18:
	s_or_b32 exec_lo, exec_lo, s1
	v_lshlrev_b32_e32 v5, 1, v80
	v_mov_b32_e32 v6, 0
	v_add_nc_u16 v11, v80, 51
	v_add_nc_u16 v13, v80, 0x44
	;; [unrolled: 1-line block ×4, first 2 shown]
	v_lshlrev_b64 v[7:8], 3, v[5:6]
	v_add_nc_u32_e32 v5, 34, v80
	v_and_b32_e32 v14, 0xff, v11
	v_and_b32_e32 v16, 0xff, v13
	;; [unrolled: 1-line block ×5, first 2 shown]
	v_mul_lo_u16 v14, 0xf1, v14
	v_add_co_u32 v7, s0, s12, v7
	v_mul_lo_u16 v16, 0xf1, v16
	v_mul_lo_u16 v12, 0xf1, v12
	;; [unrolled: 1-line block ×3, first 2 shown]
	v_add_co_ci_u32_e64 v8, s0, s13, v8, s0
	v_lshrrev_b16 v14, 12, v14
	v_lshrrev_b16 v12, 12, v12
	;; [unrolled: 1-line block ×4, first 2 shown]
	s_waitcnt lgkmcnt(0)
	s_barrier
	v_mul_lo_u16 v12, v12, 17
	buffer_gl0_inv
	global_load_dwordx4 v[7:10], v[7:8], off
	v_mul_lo_u16 v14, v14, 17
	v_mul_lo_u16 v16, v16, 17
	v_sub_nc_u16 v63, v5, v12
	v_mul_lo_u16 v12, 0xf1, v18
	v_mul_lo_u16 v17, v17, 17
	v_mov_b32_e32 v23, 4
	v_sub_nc_u16 v77, v11, v14
	v_sub_nc_u16 v78, v13, v16
	v_lshrrev_b16 v18, 12, v12
	v_sub_nc_u16 v79, v15, v17
	v_lshlrev_b32_sdwa v11, v23, v63 dst_sel:DWORD dst_unused:UNUSED_PAD src0_sel:DWORD src1_sel:BYTE_0
	v_lshlrev_b32_sdwa v16, v23, v77 dst_sel:DWORD dst_unused:UNUSED_PAD src0_sel:DWORD src1_sel:BYTE_0
	;; [unrolled: 1-line block ×3, first 2 shown]
	v_mul_lo_u16 v20, v18, 17
	v_lshlrev_b32_sdwa v24, v23, v79 dst_sel:DWORD dst_unused:UNUSED_PAD src0_sel:DWORD src1_sel:BYTE_0
	s_clause 0x1
	global_load_dwordx4 v[11:14], v11, s[12:13]
	global_load_dwordx4 v[15:18], v16, s[12:13]
	v_mov_b32_e32 v83, 2
	v_sub_nc_u16 v81, v19, v20
	global_load_dwordx4 v[19:22], v21, s[12:13]
	v_lshlrev_b32_sdwa v63, v83, v63 dst_sel:DWORD dst_unused:UNUSED_PAD src0_sel:DWORD src1_sel:BYTE_0
	v_lshlrev_b32_sdwa v27, v23, v81 dst_sel:DWORD dst_unused:UNUSED_PAD src0_sel:DWORD src1_sel:BYTE_0
	s_clause 0x1
	global_load_dwordx4 v[23:26], v24, s[12:13]
	global_load_dwordx4 v[27:30], v27, s[12:13]
	ds_read_b32 v82, v59
	ds_read2_b32 v[31:32], v60 offset0:119 offset1:136
	ds_read2_b32 v[33:34], v60 offset0:221 offset1:238
	;; [unrolled: 1-line block ×6, first 2 shown]
	v_lshlrev_b32_sdwa v77, v83, v77 dst_sel:DWORD dst_unused:UNUSED_PAD src0_sel:DWORD src1_sel:BYTE_0
	v_lshlrev_b32_sdwa v78, v83, v78 dst_sel:DWORD dst_unused:UNUSED_PAD src0_sel:DWORD src1_sel:BYTE_0
	;; [unrolled: 1-line block ×4, first 2 shown]
	ds_read2_b32 v[69:70], v62 offset0:33 offset1:50
	ds_read2_b32 v[71:72], v60 offset0:187 offset1:204
	;; [unrolled: 1-line block ×4, first 2 shown]
	v_add3_u32 v63, 0, v63, v0
	v_add3_u32 v77, 0, v77, v0
	;; [unrolled: 1-line block ×5, first 2 shown]
	s_waitcnt vmcnt(0) lgkmcnt(0)
	s_barrier
	buffer_gl0_inv
	v_add_nc_u32_e32 v83, 0x200, v79
	v_add_nc_u32_e32 v84, 0x400, v81
	v_mul_f32_e32 v0, v31, v8
	v_mul_f32_e32 v85, v57, v8
	;; [unrolled: 1-line block ×8, first 2 shown]
	v_fmac_f32_e32 v0, v57, v7
	v_fma_f32 v31, v31, v7, -v85
	v_fmac_f32_e32 v86, v46, v9
	v_fmac_f32_e32 v88, v58, v7
	v_fma_f32 v7, v32, v7, -v8
	v_fma_f32 v8, v37, v9, -v10
	;; [unrolled: 1-line block ×3, first 2 shown]
	v_fmac_f32_e32 v89, v55, v9
	v_add_f32_e32 v10, v0, v86
	v_add_f32_e32 v37, v82, v31
	v_sub_f32_e32 v57, v7, v8
	v_add_f32_e32 v58, v35, v7
	v_add_f32_e32 v7, v7, v8
	v_sub_f32_e32 v32, v31, v34
	v_add_f32_e32 v31, v31, v34
	v_add_f32_e32 v46, v43, v88
	;; [unrolled: 1-line block ×4, first 2 shown]
	v_fmac_f32_e32 v64, -0.5, v10
	v_add_f32_e32 v34, v37, v34
	v_add_f32_e32 v37, v58, v8
	v_fma_f32 v35, -0.5, v7, v35
	v_mul_f32_e32 v7, v65, v12
	v_mul_f32_e32 v8, v53, v12
	;; [unrolled: 1-line block ×3, first 2 shown]
	v_sub_f32_e32 v0, v0, v86
	v_fmac_f32_e32 v82, -0.5, v31
	v_add_f32_e32 v10, v46, v89
	v_fma_f32 v31, -0.5, v55, v43
	v_mul_f32_e32 v14, v56, v14
	v_mul_f32_e32 v43, v66, v16
	;; [unrolled: 1-line block ×3, first 2 shown]
	v_sub_f32_e32 v85, v88, v89
	v_add_f32_e32 v9, v9, v86
	v_mul_f32_e32 v16, v54, v16
	v_mul_f32_e32 v18, v51, v18
	;; [unrolled: 1-line block ×10, first 2 shown]
	v_fmamk_f32 v90, v32, 0xbf5db3d7, v64
	v_fmac_f32_e32 v7, v53, v11
	v_fmac_f32_e32 v12, v56, v13
	;; [unrolled: 1-line block ×3, first 2 shown]
	v_mul_f32_e32 v24, v50, v24
	v_fmamk_f32 v32, v0, 0x3f5db3d7, v82
	v_fmac_f32_e32 v82, 0xbf5db3d7, v0
	v_fmamk_f32 v0, v57, 0xbf5db3d7, v31
	v_fmac_f32_e32 v31, 0x3f5db3d7, v57
	v_fma_f32 v8, v65, v11, -v8
	v_fma_f32 v11, v38, v13, -v14
	v_fmac_f32_e32 v43, v54, v15
	v_fmac_f32_e32 v46, v51, v17
	v_mul_f32_e32 v26, v47, v26
	v_mul_f32_e32 v28, v45, v28
	;; [unrolled: 1-line block ×3, first 2 shown]
	v_fma_f32 v13, v66, v15, -v16
	v_fma_f32 v14, v69, v17, -v18
	v_fmac_f32_e32 v55, v49, v19
	v_fmac_f32_e32 v58, v52, v21
	;; [unrolled: 1-line block ×6, first 2 shown]
	v_fma_f32 v15, v71, v19, -v20
	v_fma_f32 v16, v70, v21, -v22
	ds_write2_b32 v60, v9, v90 offset1:17
	ds_write2_b32 v60, v64, v10 offset0:34 offset1:51
	ds_write2_b32 v60, v0, v31 offset0:68 offset1:85
	v_add_f32_e32 v9, v7, v12
	v_fma_f32 v17, v72, v23, -v24
	v_sub_f32_e32 v10, v8, v11
	v_add_f32_e32 v21, v36, v8
	v_add_f32_e32 v8, v8, v11
	;; [unrolled: 1-line block ×3, first 2 shown]
	v_fma_f32 v18, v75, v25, -v26
	v_fma_f32 v19, v33, v27, -v28
	;; [unrolled: 1-line block ×3, first 2 shown]
	v_add_f32_e32 v22, v41, v43
	v_sub_f32_e32 v24, v13, v14
	v_add_f32_e32 v25, v67, v13
	v_add_f32_e32 v13, v13, v14
	v_add_f32_e32 v28, v55, v58
	v_add_f32_e32 v38, v86, v87
	v_add_f32_e32 v49, v88, v89
	v_add_f32_e32 v0, v44, v7
	v_sub_f32_e32 v29, v15, v16
	v_add_f32_e32 v30, v68, v15
	v_add_f32_e32 v15, v15, v16
	v_fmac_f32_e32 v44, -0.5, v9
	v_sub_f32_e32 v7, v7, v12
	v_fmac_f32_e32 v36, -0.5, v8
	v_fma_f32 v9, -0.5, v23, v41
	v_sub_f32_e32 v26, v43, v46
	v_add_f32_e32 v27, v42, v55
	v_add_f32_e32 v33, v39, v86
	v_sub_f32_e32 v43, v17, v18
	v_add_f32_e32 v45, v73, v17
	v_add_f32_e32 v17, v17, v18
	;; [unrolled: 1-line block ×3, first 2 shown]
	v_sub_f32_e32 v50, v19, v20
	v_add_f32_e32 v8, v22, v46
	v_fma_f32 v46, -0.5, v13, v67
	v_fmac_f32_e32 v42, -0.5, v28
	v_fma_f32 v13, -0.5, v38, v39
	v_fmac_f32_e32 v40, -0.5, v49
	v_add_f32_e32 v51, v74, v19
	v_add_f32_e32 v19, v19, v20
	;; [unrolled: 1-line block ×3, first 2 shown]
	v_fmac_f32_e32 v68, -0.5, v15
	v_fmamk_f32 v15, v10, 0xbf5db3d7, v44
	v_fmac_f32_e32 v44, 0x3f5db3d7, v10
	v_fmamk_f32 v38, v7, 0x3f5db3d7, v36
	v_fmac_f32_e32 v36, 0xbf5db3d7, v7
	;; [unrolled: 2-line block ×3, first 2 shown]
	v_add_f32_e32 v53, v21, v11
	v_add_f32_e32 v41, v25, v14
	;; [unrolled: 1-line block ×5, first 2 shown]
	v_fma_f32 v30, -0.5, v17, v73
	v_add_f32_e32 v14, v48, v89
	v_fmamk_f32 v10, v29, 0xbf5db3d7, v42
	v_fmamk_f32 v16, v43, 0xbf5db3d7, v13
	v_fmac_f32_e32 v13, 0x3f5db3d7, v43
	v_fmamk_f32 v17, v50, 0xbf5db3d7, v40
	v_add_f32_e32 v28, v45, v18
	v_add_f32_e32 v33, v51, v20
	v_fmac_f32_e32 v74, -0.5, v19
	v_fmamk_f32 v39, v26, 0x3f5db3d7, v46
	v_fmac_f32_e32 v46, 0xbf5db3d7, v26
	v_fmac_f32_e32 v42, 0x3f5db3d7, v29
	;; [unrolled: 1-line block ×3, first 2 shown]
	ds_write2_b32 v63, v0, v15 offset0:102 offset1:119
	ds_write_b32 v63, v44 offset:544
	ds_write2_b32 v77, v8, v7 offset0:153 offset1:170
	ds_write_b32 v77, v9 offset:748
	;; [unrolled: 2-line block ×5, first 2 shown]
	s_waitcnt lgkmcnt(0)
	s_barrier
	buffer_gl0_inv
	ds_read_b32 v0, v59
	ds_read2_b32 v[9:10], v60 offset0:51 offset1:68
	ds_read2_b32 v[21:22], v60 offset0:85 offset1:102
	;; [unrolled: 1-line block ×10, first 2 shown]
	v_sub_f32_e32 v31, v55, v58
	v_sub_f32_e32 v47, v86, v87
	;; [unrolled: 1-line block ×3, first 2 shown]
	v_fmamk_f32 v57, v85, 0x3f5db3d7, v35
	v_fmac_f32_e32 v35, 0xbf5db3d7, v85
	v_fmamk_f32 v29, v31, 0x3f5db3d7, v68
	v_fmac_f32_e32 v68, 0xbf5db3d7, v31
	v_fmamk_f32 v31, v47, 0x3f5db3d7, v30
	v_fmac_f32_e32 v30, 0xbf5db3d7, v47
	v_fmamk_f32 v43, v52, 0x3f5db3d7, v74
	v_fmac_f32_e32 v74, 0xbf5db3d7, v52
	s_waitcnt lgkmcnt(0)
	s_barrier
	buffer_gl0_inv
	ds_write2_b32 v60, v34, v32 offset1:17
	ds_write2_b32 v60, v82, v37 offset0:34 offset1:51
	ds_write2_b32 v60, v57, v35 offset0:68 offset1:85
	;; [unrolled: 1-line block ×3, first 2 shown]
	ds_write_b32 v63, v36 offset:544
	ds_write2_b32 v77, v41, v39 offset0:153 offset1:170
	ds_write_b32 v77, v46 offset:748
	ds_write2_b32 v78, v27, v29 offset0:204 offset1:221
	;; [unrolled: 2-line block ×4, first 2 shown]
	ds_write_b32 v81, v74 offset:1360
	s_waitcnt lgkmcnt(0)
	s_barrier
	buffer_gl0_inv
	s_and_saveexec_b32 s0, vcc_lo
	s_cbranch_execz .LBB0_20
; %bb.19:
	v_mul_u32_u24_e32 v27, 6, v5
	v_mad_u32_u24 v5, v5, 6, 0xffffff9a
	v_mul_u32_u24_e32 v39, 6, v80
	v_add_nc_u32_e32 v85, 17, v80
	v_mul_hi_u32 v77, 0xa0a0a0a1, v80
	v_lshlrev_b32_e32 v35, 3, v27
	v_lshlrev_b64 v[51:52], 3, v[5:6]
	v_lshlrev_b32_e32 v47, 3, v39
	v_mul_lo_u32 v5, s3, v3
	v_mul_lo_u32 v79, s2, v4
	s_clause 0x5
	global_load_dwordx4 v[27:30], v35, s[12:13] offset:272
	global_load_dwordx4 v[31:34], v35, s[12:13] offset:304
	;; [unrolled: 1-line block ×6, first 2 shown]
	v_add_co_u32 v61, vcc_lo, s12, v51
	v_add_co_ci_u32_e32 v62, vcc_lo, s13, v52, vcc_lo
	v_mad_u64_u32 v[3:4], null, s2, v3, 0
	s_clause 0x2
	global_load_dwordx4 v[51:54], v[61:62], off offset:272
	global_load_dwordx4 v[55:58], v[61:62], off offset:304
	global_load_dwordx4 v[61:64], v[61:62], off offset:288
	v_mul_hi_u32 v82, 0xa0a0a0a1, v85
	v_lshrrev_b32_e32 v83, 5, v77
	v_add_nc_u32_e32 v81, 0x400, v60
	v_add_nc_u32_e32 v84, 0x200, v60
	v_add3_u32 v4, v4, v79, v5
	ds_read2_b32 v[65:66], v60 offset0:85 offset1:102
	v_mul_lo_u32 v5, v83, 51
	ds_read2_b32 v[67:68], v60 offset0:221 offset1:238
	v_lshrrev_b32_e32 v79, 5, v82
	v_lshlrev_b64 v[3:4], 3, v[3:4]
	ds_read2_b32 v[69:70], v60 offset0:187 offset1:204
	ds_read2_b32 v[71:72], v60 offset0:119 offset1:136
	;; [unrolled: 1-line block ×5, first 2 shown]
	ds_read_b32 v87, v59
	ds_read2_b32 v[59:60], v81 offset0:67 offset1:84
	ds_read2_b32 v[81:82], v81 offset0:33 offset1:50
	;; [unrolled: 1-line block ×3, first 2 shown]
	v_mul_lo_u32 v86, v79, 51
	v_lshlrev_b64 v[1:2], 3, v[1:2]
	v_add_co_u32 v3, vcc_lo, s10, v3
	v_sub_nc_u32_e32 v5, v80, v5
	v_add_co_ci_u32_e32 v4, vcc_lo, s11, v4, vcc_lo
	v_add_co_u32 v1, vcc_lo, v3, v1
	v_sub_nc_u32_e32 v3, v85, v86
	v_lshlrev_b32_e32 v5, 3, v5
	v_add_co_ci_u32_e32 v2, vcc_lo, v4, v2, vcc_lo
	v_mad_u64_u32 v[3:4], null, 0x165, v79, v[3:4]
	v_add_co_u32 v85, vcc_lo, v1, v5
	v_add_co_ci_u32_e32 v86, vcc_lo, 0, v2, vcc_lo
	s_waitcnt vmcnt(8)
	v_mul_f32_e32 v4, v21, v27
	s_waitcnt vmcnt(7)
	v_mul_f32_e32 v5, v20, v33
	;; [unrolled: 2-line block ×3, first 2 shown]
	v_mul_f32_e32 v88, v23, v35
	v_mul_f32_e32 v89, v16, v29
	;; [unrolled: 1-line block ×9, first 2 shown]
	s_waitcnt vmcnt(5)
	v_mul_f32_e32 v91, v9, v39
	s_waitcnt vmcnt(4)
	v_mul_f32_e32 v92, v26, v45
	;; [unrolled: 2-line block ×3, first 2 shown]
	v_mul_f32_e32 v94, v11, v47
	v_mul_f32_e32 v95, v22, v41
	;; [unrolled: 1-line block ×9, first 2 shown]
	s_waitcnt lgkmcnt(10)
	v_fmac_f32_e32 v4, v65, v28
	s_waitcnt lgkmcnt(2)
	v_fmac_f32_e32 v5, v60, v34
	v_fmac_f32_e32 v79, v68, v38
	;; [unrolled: 1-line block ×4, first 2 shown]
	s_waitcnt lgkmcnt(1)
	v_fmac_f32_e32 v90, v81, v32
	v_fma_f32 v20, v60, v33, -v20
	v_fma_f32 v21, v65, v27, -v21
	;; [unrolled: 1-line block ×6, first 2 shown]
	v_fmac_f32_e32 v91, v75, v40
	v_fmac_f32_e32 v92, v82, v46
	;; [unrolled: 1-line block ×5, first 2 shown]
	s_waitcnt lgkmcnt(0)
	v_fmac_f32_e32 v96, v83, v44
	v_fma_f32 v26, v82, v45, -v26
	v_fma_f32 v9, v75, v39, -v9
	v_fma_f32 v11, v77, v47, -v11
	v_fma_f32 v24, v70, v49, -v24
	v_fma_f32 v13, v83, v43, -v13
	v_fma_f32 v22, v66, v41, -v22
	s_waitcnt vmcnt(2)
	v_mul_f32_e32 v27, v10, v51
	s_waitcnt vmcnt(1)
	v_mul_f32_e32 v28, v19, v57
	;; [unrolled: 2-line block ×3, first 2 shown]
	v_mul_f32_e32 v30, v12, v61
	v_mul_f32_e32 v31, v15, v53
	;; [unrolled: 1-line block ×9, first 2 shown]
	v_sub_f32_e32 v33, v4, v5
	v_sub_f32_e32 v34, v79, v88
	v_sub_f32_e32 v35, v89, v90
	v_add_f32_e32 v36, v21, v20
	v_add_f32_e32 v37, v18, v23
	;; [unrolled: 1-line block ×6, first 2 shown]
	v_sub_f32_e32 v20, v21, v20
	v_sub_f32_e32 v18, v18, v23
	;; [unrolled: 1-line block ×6, first 2 shown]
	v_add_f32_e32 v40, v9, v26
	v_add_f32_e32 v41, v24, v11
	;; [unrolled: 1-line block ×6, first 2 shown]
	v_sub_f32_e32 v9, v9, v26
	v_sub_f32_e32 v11, v24, v11
	;; [unrolled: 1-line block ×3, first 2 shown]
	v_fmac_f32_e32 v27, v76, v52
	v_fmac_f32_e32 v28, v59, v58
	;; [unrolled: 1-line block ×6, first 2 shown]
	v_fma_f32 v19, v59, v57, -v19
	v_fma_f32 v10, v76, v51, -v10
	;; [unrolled: 1-line block ×6, first 2 shown]
	v_sub_f32_e32 v22, v33, v34
	v_sub_f32_e32 v24, v34, v35
	v_add_f32_e32 v26, v34, v35
	v_sub_f32_e32 v34, v36, v37
	v_sub_f32_e32 v46, v37, v38
	v_add_f32_e32 v47, v36, v38
	;; [unrolled: 3-line block ×4, first 2 shown]
	v_sub_f32_e32 v35, v35, v33
	v_sub_f32_e32 v36, v38, v36
	v_sub_f32_e32 v4, v39, v4
	v_sub_f32_e32 v16, v16, v20
	v_sub_f32_e32 v38, v21, v23
	v_sub_f32_e32 v39, v23, v25
	v_add_f32_e32 v23, v23, v25
	v_sub_f32_e32 v53, v40, v41
	v_sub_f32_e32 v54, v41, v42
	v_add_f32_e32 v55, v40, v42
	v_sub_f32_e32 v56, v43, v44
	v_sub_f32_e32 v57, v44, v45
	;; [unrolled: 3-line block ×4, first 2 shown]
	v_sub_f32_e32 v42, v45, v43
	v_sub_f32_e32 v13, v13, v9
	;; [unrolled: 1-line block ×4, first 2 shown]
	v_add_f32_e32 v62, v10, v19
	v_add_f32_e32 v64, v15, v14
	;; [unrolled: 1-line block ×5, first 2 shown]
	v_sub_f32_e32 v61, v31, v32
	v_add_f32_e32 v63, v17, v12
	v_sub_f32_e32 v10, v10, v19
	v_sub_f32_e32 v12, v17, v12
	;; [unrolled: 1-line block ×3, first 2 shown]
	v_mul_f32_e32 v15, 0x3f08b237, v24
	v_add_f32_e32 v17, v33, v26
	v_mul_f32_e32 v19, 0x3f4a47b2, v34
	v_mul_f32_e32 v24, 0x3d64c772, v46
	v_add_f32_e32 v26, v37, v47
	v_mul_f32_e32 v30, 0x3f4a47b2, v48
	;; [unrolled: 3-line block ×3, first 2 shown]
	v_add_f32_e32 v18, v20, v18
	v_mul_f32_e32 v20, 0xbf5ff5aa, v35
	v_mul_f32_e32 v33, 0xbf5ff5aa, v16
	;; [unrolled: 1-line block ×3, first 2 shown]
	v_add_f32_e32 v21, v21, v23
	v_mul_f32_e32 v23, 0x3f4a47b2, v53
	v_mul_f32_e32 v39, 0x3d64c772, v54
	v_add_f32_e32 v41, v41, v55
	v_mul_f32_e32 v47, 0x3d64c772, v57
	v_add_f32_e32 v44, v44, v58
	v_mul_f32_e32 v49, 0x3f08b237, v60
	v_mul_f32_e32 v50, 0xbf5ff5aa, v25
	;; [unrolled: 1-line block ×3, first 2 shown]
	v_add_f32_e32 v60, v62, v64
	v_add_f32_e32 v67, v27, v29
	v_mul_f32_e32 v46, 0x3f4a47b2, v56
	v_add_f32_e32 v11, v9, v11
	v_sub_f32_e32 v54, v43, v45
	v_sub_f32_e32 v55, v45, v61
	v_add_f32_e32 v45, v45, v61
	v_sub_f32_e32 v57, v62, v63
	v_sub_f32_e32 v58, v63, v64
	;; [unrolled: 1-line block ×6, first 2 shown]
	v_add_f32_e32 v12, v12, v14
	v_sub_f32_e32 v61, v61, v43
	v_sub_f32_e32 v62, v64, v62
	;; [unrolled: 1-line block ×4, first 2 shown]
	v_fmamk_f32 v29, v22, 0xbeae86e6, v15
	v_fmamk_f32 v34, v34, 0x3f4a47b2, v24
	v_add_f32_e32 v9, v74, v26
	v_fmamk_f32 v48, v48, 0x3f4a47b2, v31
	v_add_f32_e32 v8, v8, v32
	v_fmamk_f32 v64, v51, 0xbeae86e6, v5
	v_fma_f32 v20, 0x3eae86e6, v22, -v20
	v_fma_f32 v19, 0xbf3bfb3b, v36, -v19
	;; [unrolled: 1-line block ×8, first 2 shown]
	v_fmamk_f32 v36, v38, 0xbeae86e6, v37
	v_fmamk_f32 v16, v53, 0x3f4a47b2, v39
	v_add_f32_e32 v5, v87, v41
	v_fmamk_f32 v31, v56, 0x3f4a47b2, v47
	v_add_f32_e32 v4, v0, v44
	v_fmamk_f32 v0, v59, 0xbeae86e6, v49
	v_fma_f32 v38, 0x3eae86e6, v38, -v50
	v_fma_f32 v23, 0xbf3bfb3b, v40, -v23
	;; [unrolled: 1-line block ×6, first 2 shown]
	v_add_f32_e32 v47, v63, v60
	v_add_f32_e32 v28, v28, v67
	v_fma_f32 v46, 0xbf3bfb3b, v42, -v46
	v_fma_f32 v37, 0xbf5ff5aa, v25, -v37
	v_mul_f32_e32 v25, 0x3f08b237, v55
	v_add_f32_e32 v42, v43, v45
	v_mul_f32_e32 v43, 0x3f4a47b2, v57
	v_mul_f32_e32 v45, 0x3d64c772, v58
	;; [unrolled: 1-line block ×5, first 2 shown]
	v_add_f32_e32 v12, v10, v12
	v_mul_f32_e32 v53, 0xbf5ff5aa, v61
	v_mul_f32_e32 v55, 0xbf5ff5aa, v14
	v_fmac_f32_e32 v29, 0xbee1c552, v17
	v_fmamk_f32 v26, v26, 0xbf955555, v9
	v_fmamk_f32 v32, v32, 0xbf955555, v8
	v_fmac_f32_e32 v64, 0xbee1c552, v18
	v_fmac_f32_e32 v20, 0xbee1c552, v17
	;; [unrolled: 1-line block ×5, first 2 shown]
	v_fmamk_f32 v17, v41, 0xbf955555, v5
	v_fmamk_f32 v18, v44, 0xbf955555, v4
	v_fmac_f32_e32 v0, 0xbee1c552, v11
	v_fmac_f32_e32 v50, 0xbee1c552, v11
	;; [unrolled: 1-line block ×3, first 2 shown]
	v_add_f32_e32 v11, v73, v47
	v_add_f32_e32 v10, v7, v28
	v_fmac_f32_e32 v36, 0xbee1c552, v21
	v_fmac_f32_e32 v38, 0xbee1c552, v21
	;; [unrolled: 1-line block ×3, first 2 shown]
	global_store_dwordx2 v[85:86], v[4:5], off
	v_fmamk_f32 v44, v54, 0xbeae86e6, v25
	v_fmamk_f32 v41, v57, 0x3f4a47b2, v45
	;; [unrolled: 1-line block ×4, first 2 shown]
	v_fma_f32 v53, 0x3eae86e6, v54, -v53
	v_fma_f32 v43, 0xbf3bfb3b, v62, -v43
	;; [unrolled: 1-line block ×8, first 2 shown]
	v_add_f32_e32 v4, v34, v26
	v_add_f32_e32 v5, v48, v32
	;; [unrolled: 1-line block ×11, first 2 shown]
	v_fmamk_f32 v47, v47, 0xbf955555, v11
	v_fmamk_f32 v57, v28, 0xbf955555, v10
	v_add_f32_e32 v39, v39, v17
	v_fmac_f32_e32 v44, 0xbee1c552, v42
	v_fmac_f32_e32 v53, 0xbee1c552, v42
	;; [unrolled: 1-line block ×5, first 2 shown]
	v_add_f32_e32 v13, v29, v4
	v_add_f32_e32 v15, v20, v21
	v_sub_f32_e32 v14, v22, v30
	v_sub_f32_e32 v17, v19, v33
	v_add_f32_e32 v16, v35, v24
	v_add_f32_e32 v19, v33, v19
	v_sub_f32_e32 v18, v24, v35
	v_sub_f32_e32 v21, v21, v20
	v_add_f32_e32 v20, v30, v22
	v_sub_f32_e32 v23, v4, v29
	v_add_f32_e32 v25, v36, v32
	;; [unrolled: 2-line block ×3, first 2 shown]
	v_add_f32_e32 v28, v40, v48
	v_sub_f32_e32 v4, v48, v40
	v_sub_f32_e32 v31, v31, v38
	v_add_f32_e32 v30, v50, v46
	v_sub_f32_e32 v33, v32, v36
	v_add_f32_e32 v32, v0, v34
	v_add_f32_e32 v0, v41, v47
	;; [unrolled: 1-line block ×6, first 2 shown]
	v_fmac_f32_e32 v7, 0xbee1c552, v12
	v_sub_f32_e32 v12, v5, v64
	v_add_f32_e32 v22, v64, v5
	v_add_f32_e32 v5, v37, v39
	v_sub_f32_e32 v29, v39, v37
	global_store_dwordx2 v[85:86], v[32:33], off offset:408
	v_add_f32_e32 v33, v44, v0
	v_add_f32_e32 v35, v53, v40
	v_sub_f32_e32 v34, v43, v54
	v_sub_f32_e32 v37, v38, v55
	v_add_f32_e32 v36, v52, v41
	v_add_f32_e32 v39, v55, v38
	v_sub_f32_e32 v38, v41, v52
	v_sub_f32_e32 v41, v40, v53
	v_add_f32_e32 v40, v54, v43
	v_sub_f32_e32 v43, v0, v44
	global_store_dwordx2 v[85:86], v[30:31], off offset:816
	global_store_dwordx2 v[85:86], v[4:5], off offset:1224
	v_mov_b32_e32 v4, v6
	v_add_nc_u32_e32 v0, 34, v80
	v_add_co_u32 v30, vcc_lo, 0x800, v85
	v_sub_f32_e32 v26, v46, v50
	v_add_nc_u32_e32 v5, 51, v3
	v_add_co_ci_u32_e32 v31, vcc_lo, 0, v86, vcc_lo
	global_store_dwordx2 v[85:86], v[28:29], off offset:1632
	v_lshlrev_b64 v[28:29], 3, v[3:4]
	v_mul_hi_u32 v4, 0xa0a0a0a1, v0
	global_store_dwordx2 v[85:86], v[26:27], off offset:2040
	global_store_dwordx2 v[30:31], v[24:25], off offset:400
	v_lshlrev_b64 v[24:25], 3, v[5:6]
	v_add_nc_u32_e32 v5, 0x66, v3
	v_add_f32_e32 v42, v56, v57
	v_add_co_u32 v26, vcc_lo, v1, v28
	v_add_co_ci_u32_e32 v27, vcc_lo, v2, v29, vcc_lo
	v_lshrrev_b32_e32 v4, 5, v4
	v_lshlrev_b64 v[28:29], 3, v[5:6]
	v_add_nc_u32_e32 v5, 0x99, v3
	v_add_co_u32 v24, vcc_lo, v1, v24
	v_sub_f32_e32 v32, v42, v7
	v_add_f32_e32 v42, v7, v42
	v_mul_lo_u32 v7, v4, 51
	v_add_co_ci_u32_e32 v25, vcc_lo, v2, v25, vcc_lo
	v_add_co_u32 v28, vcc_lo, v1, v28
	v_lshlrev_b64 v[30:31], 3, v[5:6]
	v_add_nc_u32_e32 v5, 0xcc, v3
	v_add_co_ci_u32_e32 v29, vcc_lo, v2, v29, vcc_lo
	global_store_dwordx2 v[26:27], v[10:11], off
	global_store_dwordx2 v[24:25], v[42:43], off
	;; [unrolled: 1-line block ×3, first 2 shown]
	v_lshlrev_b64 v[10:11], 3, v[5:6]
	v_add_nc_u32_e32 v5, 0xff, v3
	v_sub_nc_u32_e32 v0, v0, v7
	v_add_co_u32 v24, vcc_lo, v1, v30
	v_add_co_ci_u32_e32 v25, vcc_lo, v2, v31, vcc_lo
	v_add_co_u32 v10, vcc_lo, v1, v10
	v_lshlrev_b64 v[26:27], 3, v[5:6]
	v_add_nc_u32_e32 v5, 0x132, v3
	v_mad_u64_u32 v[3:4], null, 0x165, v4, v[0:1]
	v_add_co_ci_u32_e32 v11, vcc_lo, v2, v11, vcc_lo
	v_mov_b32_e32 v4, v6
	global_store_dwordx2 v[24:25], v[38:39], off
	v_add_co_u32 v24, vcc_lo, v1, v26
	global_store_dwordx2 v[10:11], v[36:37], off
	v_lshlrev_b64 v[10:11], 3, v[5:6]
	v_add_nc_u32_e32 v5, 51, v3
	v_add_co_ci_u32_e32 v25, vcc_lo, v2, v27, vcc_lo
	v_lshlrev_b64 v[26:27], 3, v[3:4]
	v_add_co_u32 v10, vcc_lo, v1, v10
	v_lshlrev_b64 v[28:29], 3, v[5:6]
	v_add_nc_u32_e32 v5, 0x66, v3
	v_add_co_ci_u32_e32 v11, vcc_lo, v2, v11, vcc_lo
	v_add_co_u32 v26, vcc_lo, v1, v26
	v_add_co_ci_u32_e32 v27, vcc_lo, v2, v27, vcc_lo
	v_lshlrev_b64 v[30:31], 3, v[5:6]
	v_add_nc_u32_e32 v5, 0x99, v3
	v_add_co_u32 v28, vcc_lo, v1, v28
	v_add_co_ci_u32_e32 v29, vcc_lo, v2, v29, vcc_lo
	global_store_dwordx2 v[24:25], v[34:35], off
	global_store_dwordx2 v[10:11], v[32:33], off
	;; [unrolled: 1-line block ×4, first 2 shown]
	v_lshlrev_b64 v[7:8], 3, v[5:6]
	v_add_nc_u32_e32 v5, 0xcc, v3
	v_add_co_u32 v9, vcc_lo, v1, v30
	v_add_co_ci_u32_e32 v10, vcc_lo, v2, v31, vcc_lo
	v_lshlrev_b64 v[22:23], 3, v[5:6]
	v_add_nc_u32_e32 v5, 0xff, v3
	v_add_co_u32 v7, vcc_lo, v1, v7
	v_add_co_ci_u32_e32 v8, vcc_lo, v2, v8, vcc_lo
	;; [unrolled: 4-line block ×3, first 2 shown]
	v_lshlrev_b64 v[5:6], 3, v[5:6]
	v_add_co_u32 v22, vcc_lo, v1, v24
	v_add_co_ci_u32_e32 v23, vcc_lo, v2, v25, vcc_lo
	v_add_co_u32 v0, vcc_lo, v1, v5
	v_add_co_ci_u32_e32 v1, vcc_lo, v2, v6, vcc_lo
	global_store_dwordx2 v[9:10], v[20:21], off
	global_store_dwordx2 v[7:8], v[18:19], off
	;; [unrolled: 1-line block ×5, first 2 shown]
.LBB0_20:
	s_endpgm
	.section	.rodata,"a",@progbits
	.p2align	6, 0x0
	.amdhsa_kernel fft_rtc_back_len357_factors_17_3_7_wgs_187_tpt_17_halfLds_sp_op_CI_CI_unitstride_sbrr_dirReg
		.amdhsa_group_segment_fixed_size 0
		.amdhsa_private_segment_fixed_size 0
		.amdhsa_kernarg_size 104
		.amdhsa_user_sgpr_count 6
		.amdhsa_user_sgpr_private_segment_buffer 1
		.amdhsa_user_sgpr_dispatch_ptr 0
		.amdhsa_user_sgpr_queue_ptr 0
		.amdhsa_user_sgpr_kernarg_segment_ptr 1
		.amdhsa_user_sgpr_dispatch_id 0
		.amdhsa_user_sgpr_flat_scratch_init 0
		.amdhsa_user_sgpr_private_segment_size 0
		.amdhsa_wavefront_size32 1
		.amdhsa_uses_dynamic_stack 0
		.amdhsa_system_sgpr_private_segment_wavefront_offset 0
		.amdhsa_system_sgpr_workgroup_id_x 1
		.amdhsa_system_sgpr_workgroup_id_y 0
		.amdhsa_system_sgpr_workgroup_id_z 0
		.amdhsa_system_sgpr_workgroup_info 0
		.amdhsa_system_vgpr_workitem_id 0
		.amdhsa_next_free_vgpr 113
		.amdhsa_next_free_sgpr 27
		.amdhsa_reserve_vcc 1
		.amdhsa_reserve_flat_scratch 0
		.amdhsa_float_round_mode_32 0
		.amdhsa_float_round_mode_16_64 0
		.amdhsa_float_denorm_mode_32 3
		.amdhsa_float_denorm_mode_16_64 3
		.amdhsa_dx10_clamp 1
		.amdhsa_ieee_mode 1
		.amdhsa_fp16_overflow 0
		.amdhsa_workgroup_processor_mode 1
		.amdhsa_memory_ordered 1
		.amdhsa_forward_progress 0
		.amdhsa_shared_vgpr_count 0
		.amdhsa_exception_fp_ieee_invalid_op 0
		.amdhsa_exception_fp_denorm_src 0
		.amdhsa_exception_fp_ieee_div_zero 0
		.amdhsa_exception_fp_ieee_overflow 0
		.amdhsa_exception_fp_ieee_underflow 0
		.amdhsa_exception_fp_ieee_inexact 0
		.amdhsa_exception_int_div_zero 0
	.end_amdhsa_kernel
	.text
.Lfunc_end0:
	.size	fft_rtc_back_len357_factors_17_3_7_wgs_187_tpt_17_halfLds_sp_op_CI_CI_unitstride_sbrr_dirReg, .Lfunc_end0-fft_rtc_back_len357_factors_17_3_7_wgs_187_tpt_17_halfLds_sp_op_CI_CI_unitstride_sbrr_dirReg
                                        ; -- End function
	.section	.AMDGPU.csdata,"",@progbits
; Kernel info:
; codeLenInByte = 16348
; NumSgprs: 29
; NumVgprs: 113
; ScratchSize: 0
; MemoryBound: 0
; FloatMode: 240
; IeeeMode: 1
; LDSByteSize: 0 bytes/workgroup (compile time only)
; SGPRBlocks: 3
; VGPRBlocks: 14
; NumSGPRsForWavesPerEU: 29
; NumVGPRsForWavesPerEU: 113
; Occupancy: 8
; WaveLimiterHint : 1
; COMPUTE_PGM_RSRC2:SCRATCH_EN: 0
; COMPUTE_PGM_RSRC2:USER_SGPR: 6
; COMPUTE_PGM_RSRC2:TRAP_HANDLER: 0
; COMPUTE_PGM_RSRC2:TGID_X_EN: 1
; COMPUTE_PGM_RSRC2:TGID_Y_EN: 0
; COMPUTE_PGM_RSRC2:TGID_Z_EN: 0
; COMPUTE_PGM_RSRC2:TIDIG_COMP_CNT: 0
	.text
	.p2alignl 6, 3214868480
	.fill 48, 4, 3214868480
	.type	__hip_cuid_c9bbb281616884e5,@object ; @__hip_cuid_c9bbb281616884e5
	.section	.bss,"aw",@nobits
	.globl	__hip_cuid_c9bbb281616884e5
__hip_cuid_c9bbb281616884e5:
	.byte	0                               ; 0x0
	.size	__hip_cuid_c9bbb281616884e5, 1

	.ident	"AMD clang version 19.0.0git (https://github.com/RadeonOpenCompute/llvm-project roc-6.4.0 25133 c7fe45cf4b819c5991fe208aaa96edf142730f1d)"
	.section	".note.GNU-stack","",@progbits
	.addrsig
	.addrsig_sym __hip_cuid_c9bbb281616884e5
	.amdgpu_metadata
---
amdhsa.kernels:
  - .args:
      - .actual_access:  read_only
        .address_space:  global
        .offset:         0
        .size:           8
        .value_kind:     global_buffer
      - .offset:         8
        .size:           8
        .value_kind:     by_value
      - .actual_access:  read_only
        .address_space:  global
        .offset:         16
        .size:           8
        .value_kind:     global_buffer
      - .actual_access:  read_only
        .address_space:  global
        .offset:         24
        .size:           8
        .value_kind:     global_buffer
      - .actual_access:  read_only
        .address_space:  global
        .offset:         32
        .size:           8
        .value_kind:     global_buffer
      - .offset:         40
        .size:           8
        .value_kind:     by_value
      - .actual_access:  read_only
        .address_space:  global
        .offset:         48
        .size:           8
        .value_kind:     global_buffer
      - .actual_access:  read_only
        .address_space:  global
        .offset:         56
        .size:           8
        .value_kind:     global_buffer
      - .offset:         64
        .size:           4
        .value_kind:     by_value
      - .actual_access:  read_only
        .address_space:  global
        .offset:         72
        .size:           8
        .value_kind:     global_buffer
      - .actual_access:  read_only
        .address_space:  global
        .offset:         80
        .size:           8
        .value_kind:     global_buffer
      - .actual_access:  read_only
        .address_space:  global
        .offset:         88
        .size:           8
        .value_kind:     global_buffer
      - .actual_access:  write_only
        .address_space:  global
        .offset:         96
        .size:           8
        .value_kind:     global_buffer
    .group_segment_fixed_size: 0
    .kernarg_segment_align: 8
    .kernarg_segment_size: 104
    .language:       OpenCL C
    .language_version:
      - 2
      - 0
    .max_flat_workgroup_size: 187
    .name:           fft_rtc_back_len357_factors_17_3_7_wgs_187_tpt_17_halfLds_sp_op_CI_CI_unitstride_sbrr_dirReg
    .private_segment_fixed_size: 0
    .sgpr_count:     29
    .sgpr_spill_count: 0
    .symbol:         fft_rtc_back_len357_factors_17_3_7_wgs_187_tpt_17_halfLds_sp_op_CI_CI_unitstride_sbrr_dirReg.kd
    .uniform_work_group_size: 1
    .uses_dynamic_stack: false
    .vgpr_count:     113
    .vgpr_spill_count: 0
    .wavefront_size: 32
    .workgroup_processor_mode: 1
amdhsa.target:   amdgcn-amd-amdhsa--gfx1030
amdhsa.version:
  - 1
  - 2
...

	.end_amdgpu_metadata
